;; amdgpu-corpus repo=ROCm/hipCUB kind=compiled arch=gfx1250 opt=O3
	.amdgcn_target "amdgcn-amd-amdhsa--gfx1250"
	.amdhsa_code_object_version 6
	.section	.text._Z9sort_keysILj256ELj7E12hip_bfloat16N10test_utils4lessEEvPT1_T2_,"axG",@progbits,_Z9sort_keysILj256ELj7E12hip_bfloat16N10test_utils4lessEEvPT1_T2_,comdat
	.protected	_Z9sort_keysILj256ELj7E12hip_bfloat16N10test_utils4lessEEvPT1_T2_ ; -- Begin function _Z9sort_keysILj256ELj7E12hip_bfloat16N10test_utils4lessEEvPT1_T2_
	.globl	_Z9sort_keysILj256ELj7E12hip_bfloat16N10test_utils4lessEEvPT1_T2_
	.p2align	8
	.type	_Z9sort_keysILj256ELj7E12hip_bfloat16N10test_utils4lessEEvPT1_T2_,@function
_Z9sort_keysILj256ELj7E12hip_bfloat16N10test_utils4lessEEvPT1_T2_: ; @_Z9sort_keysILj256ELj7E12hip_bfloat16N10test_utils4lessEEvPT1_T2_
; %bb.0:
	s_load_b64 s[0:1], s[0:1], 0x0
	s_bfe_u32 s2, ttmp6, 0x4000c
	s_and_b32 s3, ttmp6, 15
	s_add_co_i32 s2, s2, 1
	s_getreg_b32 s4, hwreg(HW_REG_IB_STS2, 6, 4)
	s_mul_i32 s2, ttmp9, s2
	v_mul_u32_u24_e32 v5, 7, v0
	s_add_co_i32 s3, s3, s2
	s_cmp_eq_u32 s4, 0
	s_mov_b32 s6, exec_lo
	s_cselect_b32 s2, ttmp9, s3
	s_mov_b32 s3, 0
	s_mulk_i32 s2, 0x700
	v_lshlrev_b32_e32 v4, 1, v5
	s_lshl_b64 s[2:3], s[2:3], 1
	s_wait_kmcnt 0x0
	s_add_nc_u64 s[4:5], s[0:1], s[2:3]
	s_clause 0x1
	global_load_b96 v[0:2], v4, s[4:5]
	global_load_u16 v3, v5, s[4:5] offset:12 scale_offset
	s_wait_loadcnt 0x1
	s_wait_xcnt 0x0
	v_and_b32_e32 v5, 0xffff0000, v0
	v_dual_lshlrev_b32 v6, 16, v0 :: v_dual_lshrrev_b32 v7, 16, v0
	v_lshlrev_b32_e32 v10, 16, v1
	v_and_b32_e32 v8, 0xffff0000, v1
	v_dual_lshrrev_b32 v11, 16, v1 :: v_dual_lshlrev_b32 v13, 16, v2
	v_and_b32_e32 v12, 0xffff0000, v2
	v_cmp_lt_f32_e64 s1, v5, v6
	v_lshrrev_b32_e32 v9, 16, v2
	v_cmp_lt_f32_e64 s0, v8, v10
	s_delay_alu instid0(VALU_DEP_4) | instskip(NEXT) | instid1(VALU_DEP_4)
	v_cmp_lt_f32_e32 vcc_lo, v12, v13
	v_dual_cndmask_b32 v5, v7, v0, s1 :: v_dual_cndmask_b32 v0, v0, v7, s1
	s_delay_alu instid0(VALU_DEP_3) | instskip(NEXT) | instid1(VALU_DEP_2)
	v_dual_cndmask_b32 v8, v11, v1, s0 :: v_dual_cndmask_b32 v1, v1, v11, s0
	v_dual_cndmask_b32 v10, v2, v9 :: v_dual_lshlrev_b32 v7, 16, v0
	s_delay_alu instid0(VALU_DEP_2) | instskip(NEXT) | instid1(VALU_DEP_2)
	v_dual_lshlrev_b32 v13, 16, v8 :: v_dual_lshlrev_b32 v6, 16, v5
	v_dual_lshlrev_b32 v11, 16, v10 :: v_dual_lshlrev_b32 v12, 16, v1
	s_delay_alu instid0(VALU_DEP_1) | instskip(NEXT) | instid1(VALU_DEP_2)
	v_cmp_lt_f32_e64 s0, v11, v13
	v_cmp_lt_f32_e64 s2, v12, v6
	s_delay_alu instid0(VALU_DEP_1) | instskip(NEXT) | instid1(VALU_DEP_1)
	v_dual_cndmask_b32 v12, v8, v10, s0 :: v_dual_cndmask_b32 v13, v1, v5, s2
	v_dual_cndmask_b32 v1, v5, v1, s2 :: v_dual_lshlrev_b32 v5, 16, v12
	s_delay_alu instid0(VALU_DEP_2) | instskip(NEXT) | instid1(VALU_DEP_1)
	v_lshlrev_b32_e32 v6, 16, v13
	v_cmp_lt_f32_e64 s2, v5, v6
	s_delay_alu instid0(VALU_DEP_3) | instskip(NEXT) | instid1(VALU_DEP_2)
	v_dual_mov_b32 v5, 0 :: v_dual_lshlrev_b32 v14, 16, v1
	v_cndmask_b32_e64 v11, v13, v12, s2
	s_delay_alu instid0(VALU_DEP_2) | instskip(NEXT) | instid1(VALU_DEP_1)
	v_cmp_lt_f32_e64 s1, v14, v7
	v_dual_lshlrev_b32 v14, 16, v11 :: v_dual_cndmask_b32 v6, v1, v0, s1
	s_delay_alu instid0(VALU_DEP_1) | instskip(NEXT) | instid1(VALU_DEP_2)
	v_dual_mov_b32 v7, v11 :: v_dual_mov_b32 v17, v14
	v_lshlrev_b32_e32 v15, 16, v6
	s_delay_alu instid0(VALU_DEP_1)
	v_cmpx_lt_f32_e32 v14, v15
; %bb.1:
	v_dual_mov_b32 v17, v15 :: v_dual_mov_b32 v15, v14
	v_dual_mov_b32 v7, v6 :: v_dual_mov_b32 v6, v11
; %bb.2:
	s_or_b32 exec_lo, exec_lo, s6
	s_wait_loadcnt 0x0
	v_dual_cndmask_b32 v11, v9, v2 :: v_dual_lshlrev_b32 v2, 16, v3
	v_dual_cndmask_b32 v10, v10, v8, s0 :: v_dual_cndmask_b32 v12, v12, v13, s2
	s_delay_alu instid0(VALU_DEP_2) | instskip(NEXT) | instid1(VALU_DEP_1)
	v_lshlrev_b32_e32 v9, 16, v11
	v_cmp_lt_f32_e64 s0, v2, v9
	s_delay_alu instid0(VALU_DEP_3) | instskip(NEXT) | instid1(VALU_DEP_1)
	v_dual_lshlrev_b32 v2, 16, v10 :: v_dual_cndmask_b32 v9, v0, v1, s1
	v_dual_cndmask_b32 v14, v11, v3, s0 :: v_dual_lshlrev_b32 v0, 16, v9
	s_delay_alu instid0(VALU_DEP_1) | instskip(NEXT) | instid1(VALU_DEP_2)
	v_lshlrev_b32_e32 v8, 16, v14
	v_cmp_lt_f32_e32 vcc_lo, v15, v0
	s_delay_alu instid0(VALU_DEP_2) | instskip(NEXT) | instid1(VALU_DEP_1)
	v_cmp_lt_f32_e64 s2, v8, v2
	v_dual_lshlrev_b32 v2, 16, v12 :: v_dual_cndmask_b32 v16, v10, v14, s2
	s_delay_alu instid0(VALU_DEP_1) | instskip(NEXT) | instid1(VALU_DEP_1)
	v_lshlrev_b32_e32 v8, 16, v16
	v_cmp_lt_f32_e64 s1, v8, v2
	s_delay_alu instid0(VALU_DEP_1) | instskip(NEXT) | instid1(VALU_DEP_1)
	v_cndmask_b32_e64 v13, v12, v16, s1
	v_lshlrev_b32_e32 v1, 16, v13
	s_delay_alu instid0(VALU_DEP_1) | instskip(SKIP_3) | instid1(VALU_DEP_1)
	v_cmp_gt_f32_e64 s3, v17, v1
	v_add_nc_u64_e32 v[0:1], s[4:5], v[4:5]
	s_mov_b32 s5, exec_lo
	v_cndmask_b32_e64 v15, v7, v13, s3
	v_dual_cndmask_b32 v2, v6, v9 :: v_dual_lshlrev_b32 v17, 16, v15
	s_delay_alu instid0(VALU_DEP_1) | instskip(NEXT) | instid1(VALU_DEP_2)
	v_dual_lshlrev_b32 v8, 16, v2 :: v_dual_mov_b32 v4, v15
	v_mov_b32_e32 v5, v17
	s_delay_alu instid0(VALU_DEP_2)
	v_cmpx_lt_f32_e32 v17, v8
; %bb.3:
	v_dual_mov_b32 v5, v8 :: v_dual_mov_b32 v8, v17
	v_dual_mov_b32 v4, v2 :: v_dual_mov_b32 v2, v15
; %bb.4:
	s_or_b32 exec_lo, exec_lo, s5
	v_dual_cndmask_b32 v3, v3, v11, s0 :: v_dual_cndmask_b32 v10, v14, v10, s2
	s_delay_alu instid0(VALU_DEP_1) | instskip(NEXT) | instid1(VALU_DEP_2)
	v_dual_cndmask_b32 v6, v9, v6 :: v_dual_lshlrev_b32 v11, 16, v3
	v_lshlrev_b32_e32 v14, 16, v10
	s_delay_alu instid0(VALU_DEP_1) | instskip(SKIP_1) | instid1(VALU_DEP_1)
	v_cmp_lt_f32_e64 s0, v11, v14
	v_dual_cndmask_b32 v12, v16, v12, s1 :: v_dual_cndmask_b32 v7, v13, v7, s3
	v_dual_cndmask_b32 v11, v10, v3, s0 :: v_dual_lshlrev_b32 v14, 16, v12
	s_delay_alu instid0(VALU_DEP_1) | instskip(NEXT) | instid1(VALU_DEP_1)
	v_dual_cndmask_b32 v3, v3, v10, s0 :: v_dual_lshlrev_b32 v15, 16, v11
	v_cmp_lt_f32_e64 s1, v15, v14
	s_delay_alu instid0(VALU_DEP_1) | instskip(SKIP_1) | instid1(VALU_DEP_2)
	v_dual_lshlrev_b32 v15, 16, v6 :: v_dual_cndmask_b32 v13, v12, v11, s1
	v_dual_cndmask_b32 v11, v11, v12, s1 :: v_dual_lshlrev_b32 v14, 16, v7
	v_cmp_lt_f32_e64 s2, v8, v15
	s_delay_alu instid0(VALU_DEP_3) | instskip(NEXT) | instid1(VALU_DEP_1)
	v_lshlrev_b32_e32 v10, 16, v13
	v_cmp_lt_f32_e64 s0, v10, v14
	v_lshlrev_b32_e32 v12, 16, v3
	v_lshlrev_b32_e32 v10, 16, v11
	s_delay_alu instid0(VALU_DEP_3) | instskip(NEXT) | instid1(VALU_DEP_2)
	v_dual_cndmask_b32 v14, v13, v7, s0 :: v_dual_cndmask_b32 v7, v7, v13, s0
	v_cmp_lt_f32_e64 s0, v12, v10
	s_delay_alu instid0(VALU_DEP_2) | instskip(NEXT) | instid1(VALU_DEP_2)
	v_lshlrev_b32_e32 v12, 16, v7
	v_dual_cndmask_b32 v10, v11, v3, s0 :: v_dual_lshlrev_b32 v9, 16, v14
	s_delay_alu instid0(VALU_DEP_2) | instskip(NEXT) | instid1(VALU_DEP_2)
	v_cmp_gt_f32_e32 vcc_lo, v5, v12
	v_lshlrev_b32_e32 v13, 16, v10
	v_cndmask_b32_e64 v5, v2, v6, s2
	v_dual_cndmask_b32 v2, v6, v2, s2 :: v_dual_cndmask_b32 v6, v3, v11, s0
	v_cndmask_b32_e32 v8, v7, v4, vcc_lo
	s_delay_alu instid0(VALU_DEP_4) | instskip(SKIP_1) | instid1(VALU_DEP_4)
	v_cmp_lt_f32_e64 s1, v13, v9
	v_cndmask_b32_e32 v4, v4, v7, vcc_lo
	v_perm_b32 v2, v5, v2, 0x5040100
	s_delay_alu instid0(VALU_DEP_3) | instskip(SKIP_1) | instid1(VALU_DEP_4)
	v_cndmask_b32_e64 v9, v10, v14, s1
	v_cndmask_b32_e64 v7, v14, v10, s1
	v_perm_b32 v3, v8, v4, 0x5040100
	s_delay_alu instid0(VALU_DEP_2)
	v_perm_b32 v4, v9, v7, 0x5040100
	s_clause 0x1
	global_store_b16 v[0:1], v6, off offset:12
	global_store_b96 v[0:1], v[2:4], off
	s_endpgm
	.section	.rodata,"a",@progbits
	.p2align	6, 0x0
	.amdhsa_kernel _Z9sort_keysILj256ELj7E12hip_bfloat16N10test_utils4lessEEvPT1_T2_
		.amdhsa_group_segment_fixed_size 0
		.amdhsa_private_segment_fixed_size 0
		.amdhsa_kernarg_size 12
		.amdhsa_user_sgpr_count 2
		.amdhsa_user_sgpr_dispatch_ptr 0
		.amdhsa_user_sgpr_queue_ptr 0
		.amdhsa_user_sgpr_kernarg_segment_ptr 1
		.amdhsa_user_sgpr_dispatch_id 0
		.amdhsa_user_sgpr_kernarg_preload_length 0
		.amdhsa_user_sgpr_kernarg_preload_offset 0
		.amdhsa_user_sgpr_private_segment_size 0
		.amdhsa_wavefront_size32 1
		.amdhsa_uses_dynamic_stack 0
		.amdhsa_enable_private_segment 0
		.amdhsa_system_sgpr_workgroup_id_x 1
		.amdhsa_system_sgpr_workgroup_id_y 0
		.amdhsa_system_sgpr_workgroup_id_z 0
		.amdhsa_system_sgpr_workgroup_info 0
		.amdhsa_system_vgpr_workitem_id 0
		.amdhsa_next_free_vgpr 18
		.amdhsa_next_free_sgpr 7
		.amdhsa_named_barrier_count 0
		.amdhsa_reserve_vcc 1
		.amdhsa_float_round_mode_32 0
		.amdhsa_float_round_mode_16_64 0
		.amdhsa_float_denorm_mode_32 3
		.amdhsa_float_denorm_mode_16_64 3
		.amdhsa_fp16_overflow 0
		.amdhsa_memory_ordered 1
		.amdhsa_forward_progress 1
		.amdhsa_inst_pref_size 8
		.amdhsa_round_robin_scheduling 0
		.amdhsa_exception_fp_ieee_invalid_op 0
		.amdhsa_exception_fp_denorm_src 0
		.amdhsa_exception_fp_ieee_div_zero 0
		.amdhsa_exception_fp_ieee_overflow 0
		.amdhsa_exception_fp_ieee_underflow 0
		.amdhsa_exception_fp_ieee_inexact 0
		.amdhsa_exception_int_div_zero 0
	.end_amdhsa_kernel
	.section	.text._Z9sort_keysILj256ELj7E12hip_bfloat16N10test_utils4lessEEvPT1_T2_,"axG",@progbits,_Z9sort_keysILj256ELj7E12hip_bfloat16N10test_utils4lessEEvPT1_T2_,comdat
.Lfunc_end0:
	.size	_Z9sort_keysILj256ELj7E12hip_bfloat16N10test_utils4lessEEvPT1_T2_, .Lfunc_end0-_Z9sort_keysILj256ELj7E12hip_bfloat16N10test_utils4lessEEvPT1_T2_
                                        ; -- End function
	.set _Z9sort_keysILj256ELj7E12hip_bfloat16N10test_utils4lessEEvPT1_T2_.num_vgpr, 18
	.set _Z9sort_keysILj256ELj7E12hip_bfloat16N10test_utils4lessEEvPT1_T2_.num_agpr, 0
	.set _Z9sort_keysILj256ELj7E12hip_bfloat16N10test_utils4lessEEvPT1_T2_.numbered_sgpr, 7
	.set _Z9sort_keysILj256ELj7E12hip_bfloat16N10test_utils4lessEEvPT1_T2_.num_named_barrier, 0
	.set _Z9sort_keysILj256ELj7E12hip_bfloat16N10test_utils4lessEEvPT1_T2_.private_seg_size, 0
	.set _Z9sort_keysILj256ELj7E12hip_bfloat16N10test_utils4lessEEvPT1_T2_.uses_vcc, 1
	.set _Z9sort_keysILj256ELj7E12hip_bfloat16N10test_utils4lessEEvPT1_T2_.uses_flat_scratch, 0
	.set _Z9sort_keysILj256ELj7E12hip_bfloat16N10test_utils4lessEEvPT1_T2_.has_dyn_sized_stack, 0
	.set _Z9sort_keysILj256ELj7E12hip_bfloat16N10test_utils4lessEEvPT1_T2_.has_recursion, 0
	.set _Z9sort_keysILj256ELj7E12hip_bfloat16N10test_utils4lessEEvPT1_T2_.has_indirect_call, 0
	.section	.AMDGPU.csdata,"",@progbits
; Kernel info:
; codeLenInByte = 976
; TotalNumSgprs: 9
; NumVgprs: 18
; ScratchSize: 0
; MemoryBound: 0
; FloatMode: 240
; IeeeMode: 1
; LDSByteSize: 0 bytes/workgroup (compile time only)
; SGPRBlocks: 0
; VGPRBlocks: 1
; NumSGPRsForWavesPerEU: 9
; NumVGPRsForWavesPerEU: 18
; NamedBarCnt: 0
; Occupancy: 16
; WaveLimiterHint : 0
; COMPUTE_PGM_RSRC2:SCRATCH_EN: 0
; COMPUTE_PGM_RSRC2:USER_SGPR: 2
; COMPUTE_PGM_RSRC2:TRAP_HANDLER: 0
; COMPUTE_PGM_RSRC2:TGID_X_EN: 1
; COMPUTE_PGM_RSRC2:TGID_Y_EN: 0
; COMPUTE_PGM_RSRC2:TGID_Z_EN: 0
; COMPUTE_PGM_RSRC2:TIDIG_COMP_CNT: 0
	.section	.text._Z9sort_keysILj256ELj6E6__halfN10test_utils4lessEEvPT1_T2_,"axG",@progbits,_Z9sort_keysILj256ELj6E6__halfN10test_utils4lessEEvPT1_T2_,comdat
	.protected	_Z9sort_keysILj256ELj6E6__halfN10test_utils4lessEEvPT1_T2_ ; -- Begin function _Z9sort_keysILj256ELj6E6__halfN10test_utils4lessEEvPT1_T2_
	.globl	_Z9sort_keysILj256ELj6E6__halfN10test_utils4lessEEvPT1_T2_
	.p2align	8
	.type	_Z9sort_keysILj256ELj6E6__halfN10test_utils4lessEEvPT1_T2_,@function
_Z9sort_keysILj256ELj6E6__halfN10test_utils4lessEEvPT1_T2_: ; @_Z9sort_keysILj256ELj6E6__halfN10test_utils4lessEEvPT1_T2_
; %bb.0:
	s_load_b64 s[0:1], s[0:1], 0x0
	s_bfe_u32 s2, ttmp6, 0x4000c
	s_and_b32 s3, ttmp6, 15
	s_add_co_i32 s2, s2, 1
	s_getreg_b32 s4, hwreg(HW_REG_IB_STS2, 6, 4)
	s_mul_i32 s2, ttmp9, s2
	v_mul_u32_u24_e32 v0, 6, v0
	s_add_co_i32 s3, s3, s2
	s_cmp_eq_u32 s4, 0
	v_mov_b32_e32 v5, 0
	s_cselect_b32 s2, ttmp9, s3
	s_mov_b32 s3, 0
	s_mulk_i32 s2, 0x600
	v_lshlrev_b32_e32 v4, 1, v0
	s_lshl_b64 s[2:3], s[2:3], 1
	s_wait_kmcnt 0x0
	s_add_nc_u64 s[4:5], s[0:1], s[2:3]
	s_mov_b32 s2, exec_lo
	global_load_b96 v[0:2], v4, s[4:5]
	s_wait_loadcnt 0x0
	v_lshrrev_b32_e32 v9, 16, v0
	s_delay_alu instid0(VALU_DEP_1) | instskip(SKIP_1) | instid1(VALU_DEP_1)
	v_cmp_gt_f16_e32 vcc_lo, v0, v9
	v_dual_lshrrev_b32 v10, 16, v1 :: v_dual_cndmask_b32 v8, v9, v0, vcc_lo
	v_cmp_gt_f16_e64 s0, v1, v10
	s_delay_alu instid0(VALU_DEP_1) | instskip(NEXT) | instid1(VALU_DEP_1)
	v_dual_mov_b32 v6, v8 :: v_dual_cndmask_b32 v7, v1, v10, s0
	v_dual_mov_b32 v3, v7 :: v_dual_mov_b32 v15, v7
	v_cmpx_ngt_f16_e32 v8, v7
; %bb.1:
	v_dual_cndmask_b32 v3, v9, v0, vcc_lo :: v_dual_mov_b32 v15, v8
	v_dual_cndmask_b32 v6, v1, v10, s0 :: v_dual_mov_b32 v8, v7
	s_delay_alu instid0(VALU_DEP_2)
	v_mov_b32_e32 v7, v3
; %bb.2:
	s_or_b32 exec_lo, exec_lo, s2
	v_dual_lshrrev_b32 v11, 16, v2 :: v_dual_cndmask_b32 v12, v10, v1, s0
	v_cndmask_b32_e32 v9, v0, v9, vcc_lo
	v_add_nc_u64_e32 v[0:1], s[4:5], v[4:5]
	s_mov_b32 s4, exec_lo
	s_delay_alu instid0(VALU_DEP_3) | instskip(NEXT) | instid1(VALU_DEP_3)
	v_cmp_gt_f16_e64 s0, v2, v11
	v_cmp_gt_f16_e32 vcc_lo, v9, v3
	s_delay_alu instid0(VALU_DEP_2) | instskip(NEXT) | instid1(VALU_DEP_1)
	v_dual_cndmask_b32 v14, v2, v11, s0 :: v_dual_cndmask_b32 v15, v15, v9, vcc_lo
	v_cmp_gt_f16_e64 s2, v12, v14
	s_delay_alu instid0(VALU_DEP_2) | instskip(NEXT) | instid1(VALU_DEP_2)
	v_dual_mov_b32 v10, v15 :: v_dual_mov_b32 v5, v15
	v_cndmask_b32_e64 v13, v12, v14, s2
	s_delay_alu instid0(VALU_DEP_1) | instskip(NEXT) | instid1(VALU_DEP_1)
	v_cmp_gt_f16_e64 s1, v6, v13
	v_cndmask_b32_e64 v8, v8, v13, s1
	s_delay_alu instid0(VALU_DEP_1)
	v_mov_b32_e32 v4, v8
	v_cmpx_ngt_f16_e32 v15, v8
; %bb.3:
	v_dual_cndmask_b32 v5, v6, v13, s1 :: v_dual_mov_b32 v10, v8
	v_cndmask_b32_e32 v4, v7, v9, vcc_lo
	v_mov_b32_e32 v8, v15
; %bb.4:
	s_or_b32 exec_lo, exec_lo, s4
	v_dual_cndmask_b32 v7, v14, v12, s2 :: v_dual_cndmask_b32 v2, v11, v2, s0
	v_cndmask_b32_e32 v3, v9, v3, vcc_lo
	s_delay_alu instid0(VALU_DEP_2) | instskip(SKIP_1) | instid1(VALU_DEP_3)
	v_cmp_gt_f16_e64 s0, v7, v2
	v_cndmask_b32_e64 v6, v13, v6, s1
	v_cmp_gt_f16_e64 s1, v3, v4
	s_delay_alu instid0(VALU_DEP_3) | instskip(NEXT) | instid1(VALU_DEP_1)
	v_dual_cndmask_b32 v11, v2, v7, s0 :: v_dual_cndmask_b32 v2, v7, v2, s0
	v_cmp_gt_f16_e64 s0, v6, v2
	s_delay_alu instid0(VALU_DEP_1) | instskip(SKIP_1) | instid1(VALU_DEP_1)
	v_cndmask_b32_e64 v7, v2, v6, s0
	v_cndmask_b32_e64 v2, v6, v2, s0
	v_cmp_gt_f16_e32 vcc_lo, v5, v2
	v_cndmask_b32_e32 v6, v2, v5, vcc_lo
	s_delay_alu instid0(VALU_DEP_4) | instskip(NEXT) | instid1(VALU_DEP_1)
	v_cmp_gt_f16_e64 s0, v7, v11
	v_cndmask_b32_e64 v9, v7, v11, s0
	v_dual_cndmask_b32 v8, v8, v3, s1 :: v_dual_cndmask_b32 v10, v10, v2, vcc_lo
	v_dual_cndmask_b32 v2, v5, v2, vcc_lo :: v_dual_cndmask_b32 v5, v3, v4, s1
	s_delay_alu instid0(VALU_DEP_3) | instskip(NEXT) | instid1(VALU_DEP_3)
	v_cmp_gt_f16_e32 vcc_lo, v6, v9
	v_cmp_gt_f16_e64 s1, v8, v10
	v_dual_cndmask_b32 v4, v9, v6 :: v_dual_cndmask_b32 v3, v6, v9
	s_delay_alu instid0(VALU_DEP_2) | instskip(SKIP_1) | instid1(VALU_DEP_2)
	v_dual_cndmask_b32 v6, v11, v7, s0 :: v_dual_cndmask_b32 v2, v2, v8, s1
	v_cndmask_b32_e64 v7, v8, v10, s1
	v_perm_b32 v4, v6, v4, 0x5040100
	s_delay_alu instid0(VALU_DEP_3) | instskip(NEXT) | instid1(VALU_DEP_3)
	v_perm_b32 v3, v3, v2, 0x5040100
	v_perm_b32 v2, v7, v5, 0x5040100
	global_store_b96 v[0:1], v[2:4], off
	s_endpgm
	.section	.rodata,"a",@progbits
	.p2align	6, 0x0
	.amdhsa_kernel _Z9sort_keysILj256ELj6E6__halfN10test_utils4lessEEvPT1_T2_
		.amdhsa_group_segment_fixed_size 0
		.amdhsa_private_segment_fixed_size 0
		.amdhsa_kernarg_size 12
		.amdhsa_user_sgpr_count 2
		.amdhsa_user_sgpr_dispatch_ptr 0
		.amdhsa_user_sgpr_queue_ptr 0
		.amdhsa_user_sgpr_kernarg_segment_ptr 1
		.amdhsa_user_sgpr_dispatch_id 0
		.amdhsa_user_sgpr_kernarg_preload_length 0
		.amdhsa_user_sgpr_kernarg_preload_offset 0
		.amdhsa_user_sgpr_private_segment_size 0
		.amdhsa_wavefront_size32 1
		.amdhsa_uses_dynamic_stack 0
		.amdhsa_enable_private_segment 0
		.amdhsa_system_sgpr_workgroup_id_x 1
		.amdhsa_system_sgpr_workgroup_id_y 0
		.amdhsa_system_sgpr_workgroup_id_z 0
		.amdhsa_system_sgpr_workgroup_info 0
		.amdhsa_system_vgpr_workitem_id 0
		.amdhsa_next_free_vgpr 16
		.amdhsa_next_free_sgpr 6
		.amdhsa_named_barrier_count 0
		.amdhsa_reserve_vcc 1
		.amdhsa_float_round_mode_32 0
		.amdhsa_float_round_mode_16_64 0
		.amdhsa_float_denorm_mode_32 3
		.amdhsa_float_denorm_mode_16_64 3
		.amdhsa_fp16_overflow 0
		.amdhsa_memory_ordered 1
		.amdhsa_forward_progress 1
		.amdhsa_inst_pref_size 5
		.amdhsa_round_robin_scheduling 0
		.amdhsa_exception_fp_ieee_invalid_op 0
		.amdhsa_exception_fp_denorm_src 0
		.amdhsa_exception_fp_ieee_div_zero 0
		.amdhsa_exception_fp_ieee_overflow 0
		.amdhsa_exception_fp_ieee_underflow 0
		.amdhsa_exception_fp_ieee_inexact 0
		.amdhsa_exception_int_div_zero 0
	.end_amdhsa_kernel
	.section	.text._Z9sort_keysILj256ELj6E6__halfN10test_utils4lessEEvPT1_T2_,"axG",@progbits,_Z9sort_keysILj256ELj6E6__halfN10test_utils4lessEEvPT1_T2_,comdat
.Lfunc_end1:
	.size	_Z9sort_keysILj256ELj6E6__halfN10test_utils4lessEEvPT1_T2_, .Lfunc_end1-_Z9sort_keysILj256ELj6E6__halfN10test_utils4lessEEvPT1_T2_
                                        ; -- End function
	.set _Z9sort_keysILj256ELj6E6__halfN10test_utils4lessEEvPT1_T2_.num_vgpr, 16
	.set _Z9sort_keysILj256ELj6E6__halfN10test_utils4lessEEvPT1_T2_.num_agpr, 0
	.set _Z9sort_keysILj256ELj6E6__halfN10test_utils4lessEEvPT1_T2_.numbered_sgpr, 6
	.set _Z9sort_keysILj256ELj6E6__halfN10test_utils4lessEEvPT1_T2_.num_named_barrier, 0
	.set _Z9sort_keysILj256ELj6E6__halfN10test_utils4lessEEvPT1_T2_.private_seg_size, 0
	.set _Z9sort_keysILj256ELj6E6__halfN10test_utils4lessEEvPT1_T2_.uses_vcc, 1
	.set _Z9sort_keysILj256ELj6E6__halfN10test_utils4lessEEvPT1_T2_.uses_flat_scratch, 0
	.set _Z9sort_keysILj256ELj6E6__halfN10test_utils4lessEEvPT1_T2_.has_dyn_sized_stack, 0
	.set _Z9sort_keysILj256ELj6E6__halfN10test_utils4lessEEvPT1_T2_.has_recursion, 0
	.set _Z9sort_keysILj256ELj6E6__halfN10test_utils4lessEEvPT1_T2_.has_indirect_call, 0
	.section	.AMDGPU.csdata,"",@progbits
; Kernel info:
; codeLenInByte = 580
; TotalNumSgprs: 8
; NumVgprs: 16
; ScratchSize: 0
; MemoryBound: 0
; FloatMode: 240
; IeeeMode: 1
; LDSByteSize: 0 bytes/workgroup (compile time only)
; SGPRBlocks: 0
; VGPRBlocks: 0
; NumSGPRsForWavesPerEU: 8
; NumVGPRsForWavesPerEU: 16
; NamedBarCnt: 0
; Occupancy: 16
; WaveLimiterHint : 0
; COMPUTE_PGM_RSRC2:SCRATCH_EN: 0
; COMPUTE_PGM_RSRC2:USER_SGPR: 2
; COMPUTE_PGM_RSRC2:TRAP_HANDLER: 0
; COMPUTE_PGM_RSRC2:TGID_X_EN: 1
; COMPUTE_PGM_RSRC2:TGID_Y_EN: 0
; COMPUTE_PGM_RSRC2:TGID_Z_EN: 0
; COMPUTE_PGM_RSRC2:TIDIG_COMP_CNT: 0
	.section	.text._Z9sort_keysILj256ELj4EN10test_utils16custom_test_typeIiEENS0_4lessEEvPT1_T2_,"axG",@progbits,_Z9sort_keysILj256ELj4EN10test_utils16custom_test_typeIiEENS0_4lessEEvPT1_T2_,comdat
	.protected	_Z9sort_keysILj256ELj4EN10test_utils16custom_test_typeIiEENS0_4lessEEvPT1_T2_ ; -- Begin function _Z9sort_keysILj256ELj4EN10test_utils16custom_test_typeIiEENS0_4lessEEvPT1_T2_
	.globl	_Z9sort_keysILj256ELj4EN10test_utils16custom_test_typeIiEENS0_4lessEEvPT1_T2_
	.p2align	8
	.type	_Z9sort_keysILj256ELj4EN10test_utils16custom_test_typeIiEENS0_4lessEEvPT1_T2_,@function
_Z9sort_keysILj256ELj4EN10test_utils16custom_test_typeIiEENS0_4lessEEvPT1_T2_: ; @_Z9sort_keysILj256ELj4EN10test_utils16custom_test_typeIiEENS0_4lessEEvPT1_T2_
; %bb.0:
	s_load_b64 s[0:1], s[0:1], 0x0
	s_bfe_u32 s2, ttmp6, 0x4000c
	s_and_b32 s3, ttmp6, 15
	s_add_co_i32 s2, s2, 1
	s_getreg_b32 s4, hwreg(HW_REG_IB_STS2, 6, 4)
	s_mul_i32 s2, ttmp9, s2
	v_lshlrev_b32_e32 v14, 5, v0
	s_add_co_i32 s3, s3, s2
	s_cmp_eq_u32 s4, 0
	s_cselect_b32 s2, ttmp9, s3
	s_mov_b32 s3, 0
	s_lshl_b32 s2, s2, 10
	s_delay_alu instid0(SALU_CYCLE_1)
	s_lshl_b64 s[2:3], s[2:3], 3
	s_wait_kmcnt 0x0
	s_add_nc_u64 s[2:3], s[0:1], s[2:3]
	s_clause 0x1
	global_load_b128 v[0:3], v14, s[2:3]
	global_load_b128 v[4:7], v14, s[2:3] offset:16
	s_wait_loadcnt 0x1
	v_cmp_eq_u32_e32 vcc_lo, v2, v0
	v_cmp_lt_i32_e64 s0, v3, v1
	v_cmp_lt_i32_e64 s1, v2, v0
	v_mov_b64_e32 v[8:9], v[2:3]
	v_dual_mov_b32 v20, v1 :: v_dual_mov_b32 v21, v0
	s_and_b32 s0, vcc_lo, s0
	s_delay_alu instid0(SALU_CYCLE_1)
	s_or_b32 s1, s1, s0
	s_wait_xcnt 0x0
	s_and_saveexec_b32 s0, s1
; %bb.1:
	v_mov_b64_e32 v[10:11], v[0:1]
	v_mov_b64_e32 v[8:9], v[0:1]
	;; [unrolled: 1-line block ×3, first 2 shown]
	v_dual_mov_b32 v20, v3 :: v_dual_mov_b32 v21, v2
	s_delay_alu instid0(VALU_DEP_4)
	v_mov_b64_e32 v[2:3], v[10:11]
; %bb.2:
	s_or_b32 exec_lo, exec_lo, s0
	s_wait_loadcnt 0x0
	v_cmp_eq_u32_e64 s0, v6, v4
	v_cmp_lt_i32_e64 s1, v7, v5
	v_cmp_lt_i32_e32 vcc_lo, v6, v4
	v_mov_b64_e32 v[10:11], v[6:7]
	v_mov_b64_e32 v[16:17], v[4:5]
	;; [unrolled: 1-line block ×3, first 2 shown]
	v_dual_mov_b32 v15, 0 :: v_dual_mov_b32 v22, v5
	v_mov_b32_e32 v23, v4
	s_and_b32 s0, s0, s1
	s_delay_alu instid0(SALU_CYCLE_1) | instskip(NEXT) | instid1(SALU_CYCLE_1)
	s_or_b32 s1, vcc_lo, s0
	s_and_saveexec_b32 s0, s1
; %bb.3:
	v_mov_b64_e32 v[10:11], v[4:5]
	v_mov_b64_e32 v[16:17], v[6:7]
	;; [unrolled: 1-line block ×4, first 2 shown]
	v_dual_mov_b32 v22, v7 :: v_dual_mov_b32 v23, v6
; %bb.4:
	s_or_b32 exec_lo, exec_lo, s0
	s_delay_alu instid0(VALU_DEP_1) | instskip(NEXT) | instid1(VALU_DEP_2)
	v_cmp_ne_u32_e32 vcc_lo, v23, v2
	v_cmp_ge_i32_e64 s0, v22, v3
	v_cmp_ge_i32_e64 s1, v23, v2
	v_dual_mov_b32 v24, v2 :: v_dual_mov_b32 v25, v3
                                        ; implicit-def: $vgpr18_vgpr19
	s_or_b32 s0, vcc_lo, s0
	s_delay_alu instid0(SALU_CYCLE_1) | instskip(NEXT) | instid1(SALU_CYCLE_1)
	s_and_b32 s0, s1, s0
	s_and_saveexec_b32 s1, s0
	s_delay_alu instid0(SALU_CYCLE_1)
	s_xor_b32 s0, exec_lo, s1
; %bb.5:
	v_mov_b64_e32 v[18:19], v[2:3]
; %bb.6:
	s_or_saveexec_b32 s0, s0
	v_add_nc_u64_e32 v[6:7], s[2:3], v[14:15]
	v_mov_b64_e32 v[14:15], v[4:5]
	v_dual_mov_b32 v26, v22 :: v_dual_mov_b32 v27, v23
	s_xor_b32 exec_lo, exec_lo, s0
	s_cbranch_execz .LBB2_8
; %bb.7:
	v_mov_b64_e32 v[14:15], v[8:9]
	v_mov_b64_e32 v[18:19], v[4:5]
	v_dual_mov_b32 v26, v9 :: v_dual_mov_b32 v27, v8
	v_mov_b64_e32 v[16:17], v[8:9]
	v_mov_b64_e32 v[8:9], v[4:5]
	;; [unrolled: 1-line block ×3, first 2 shown]
	v_dual_mov_b32 v25, v22 :: v_dual_mov_b32 v24, v23
.LBB2_8:
	s_or_b32 exec_lo, exec_lo, s0
	s_delay_alu instid0(VALU_DEP_1) | instskip(NEXT) | instid1(VALU_DEP_2)
	v_cmp_eq_u32_e32 vcc_lo, v24, v21
	v_cmp_lt_i32_e64 s0, v25, v20
	v_cmp_lt_i32_e64 s1, v24, v21
	v_cmp_eq_u32_e64 s2, v12, v27
	v_cmp_lt_i32_e64 s3, v13, v26
	s_and_b32 s0, vcc_lo, s0
	v_cmp_lt_i32_e32 vcc_lo, v12, v27
	s_or_b32 s0, s1, s0
	s_and_b32 s1, s2, s3
	v_dual_cndmask_b32 v4, v8, v0, s0 :: v_dual_cndmask_b32 v5, v3, v1, s0
	s_or_b32 vcc_lo, vcc_lo, s1
	s_delay_alu instid0(SALU_CYCLE_1) | instskip(SKIP_3) | instid1(VALU_DEP_3)
	v_dual_cndmask_b32 v2, v2, v0, s0 :: v_dual_cndmask_b32 v3, v11, v17, vcc_lo
	v_dual_cndmask_b32 v14, v14, v12 :: v_dual_cndmask_b32 v11, v15, v13
	v_dual_cndmask_b32 v15, v9, v1, s0 :: v_dual_cndmask_b32 v8, v0, v18, s0
	v_cndmask_b32_e64 v9, v1, v19, s0
	v_cmp_eq_u32_e64 s1, v14, v2
	s_delay_alu instid0(VALU_DEP_4) | instskip(SKIP_4) | instid1(SALU_CYCLE_1)
	v_cmp_lt_i32_e64 s2, v11, v5
	v_cmp_lt_i32_e64 s0, v14, v2
	v_dual_cndmask_b32 v0, v17, v13 :: v_dual_cndmask_b32 v5, v16, v12
	v_cndmask_b32_e32 v2, v10, v16, vcc_lo
	s_and_b32 s1, s1, s2
	s_or_b32 vcc_lo, s0, s1
	v_dual_cndmask_b32 v11, v15, v11 :: v_dual_cndmask_b32 v10, v4, v14
	v_dual_cndmask_b32 v1, v0, v15 :: v_dual_cndmask_b32 v0, v5, v4
	s_clause 0x1
	global_store_b128 v[6:7], v[8:11], off
	global_store_b128 v[6:7], v[0:3], off offset:16
	s_endpgm
	.section	.rodata,"a",@progbits
	.p2align	6, 0x0
	.amdhsa_kernel _Z9sort_keysILj256ELj4EN10test_utils16custom_test_typeIiEENS0_4lessEEvPT1_T2_
		.amdhsa_group_segment_fixed_size 0
		.amdhsa_private_segment_fixed_size 0
		.amdhsa_kernarg_size 12
		.amdhsa_user_sgpr_count 2
		.amdhsa_user_sgpr_dispatch_ptr 0
		.amdhsa_user_sgpr_queue_ptr 0
		.amdhsa_user_sgpr_kernarg_segment_ptr 1
		.amdhsa_user_sgpr_dispatch_id 0
		.amdhsa_user_sgpr_kernarg_preload_length 0
		.amdhsa_user_sgpr_kernarg_preload_offset 0
		.amdhsa_user_sgpr_private_segment_size 0
		.amdhsa_wavefront_size32 1
		.amdhsa_uses_dynamic_stack 0
		.amdhsa_enable_private_segment 0
		.amdhsa_system_sgpr_workgroup_id_x 1
		.amdhsa_system_sgpr_workgroup_id_y 0
		.amdhsa_system_sgpr_workgroup_id_z 0
		.amdhsa_system_sgpr_workgroup_info 0
		.amdhsa_system_vgpr_workitem_id 0
		.amdhsa_next_free_vgpr 28
		.amdhsa_next_free_sgpr 5
		.amdhsa_named_barrier_count 0
		.amdhsa_reserve_vcc 1
		.amdhsa_float_round_mode_32 0
		.amdhsa_float_round_mode_16_64 0
		.amdhsa_float_denorm_mode_32 3
		.amdhsa_float_denorm_mode_16_64 3
		.amdhsa_fp16_overflow 0
		.amdhsa_memory_ordered 1
		.amdhsa_forward_progress 1
		.amdhsa_inst_pref_size 5
		.amdhsa_round_robin_scheduling 0
		.amdhsa_exception_fp_ieee_invalid_op 0
		.amdhsa_exception_fp_denorm_src 0
		.amdhsa_exception_fp_ieee_div_zero 0
		.amdhsa_exception_fp_ieee_overflow 0
		.amdhsa_exception_fp_ieee_underflow 0
		.amdhsa_exception_fp_ieee_inexact 0
		.amdhsa_exception_int_div_zero 0
	.end_amdhsa_kernel
	.section	.text._Z9sort_keysILj256ELj4EN10test_utils16custom_test_typeIiEENS0_4lessEEvPT1_T2_,"axG",@progbits,_Z9sort_keysILj256ELj4EN10test_utils16custom_test_typeIiEENS0_4lessEEvPT1_T2_,comdat
.Lfunc_end2:
	.size	_Z9sort_keysILj256ELj4EN10test_utils16custom_test_typeIiEENS0_4lessEEvPT1_T2_, .Lfunc_end2-_Z9sort_keysILj256ELj4EN10test_utils16custom_test_typeIiEENS0_4lessEEvPT1_T2_
                                        ; -- End function
	.set _Z9sort_keysILj256ELj4EN10test_utils16custom_test_typeIiEENS0_4lessEEvPT1_T2_.num_vgpr, 28
	.set _Z9sort_keysILj256ELj4EN10test_utils16custom_test_typeIiEENS0_4lessEEvPT1_T2_.num_agpr, 0
	.set _Z9sort_keysILj256ELj4EN10test_utils16custom_test_typeIiEENS0_4lessEEvPT1_T2_.numbered_sgpr, 5
	.set _Z9sort_keysILj256ELj4EN10test_utils16custom_test_typeIiEENS0_4lessEEvPT1_T2_.num_named_barrier, 0
	.set _Z9sort_keysILj256ELj4EN10test_utils16custom_test_typeIiEENS0_4lessEEvPT1_T2_.private_seg_size, 0
	.set _Z9sort_keysILj256ELj4EN10test_utils16custom_test_typeIiEENS0_4lessEEvPT1_T2_.uses_vcc, 1
	.set _Z9sort_keysILj256ELj4EN10test_utils16custom_test_typeIiEENS0_4lessEEvPT1_T2_.uses_flat_scratch, 0
	.set _Z9sort_keysILj256ELj4EN10test_utils16custom_test_typeIiEENS0_4lessEEvPT1_T2_.has_dyn_sized_stack, 0
	.set _Z9sort_keysILj256ELj4EN10test_utils16custom_test_typeIiEENS0_4lessEEvPT1_T2_.has_recursion, 0
	.set _Z9sort_keysILj256ELj4EN10test_utils16custom_test_typeIiEENS0_4lessEEvPT1_T2_.has_indirect_call, 0
	.section	.AMDGPU.csdata,"",@progbits
; Kernel info:
; codeLenInByte = 620
; TotalNumSgprs: 7
; NumVgprs: 28
; ScratchSize: 0
; MemoryBound: 0
; FloatMode: 240
; IeeeMode: 1
; LDSByteSize: 0 bytes/workgroup (compile time only)
; SGPRBlocks: 0
; VGPRBlocks: 1
; NumSGPRsForWavesPerEU: 7
; NumVGPRsForWavesPerEU: 28
; NamedBarCnt: 0
; Occupancy: 16
; WaveLimiterHint : 0
; COMPUTE_PGM_RSRC2:SCRATCH_EN: 0
; COMPUTE_PGM_RSRC2:USER_SGPR: 2
; COMPUTE_PGM_RSRC2:TRAP_HANDLER: 0
; COMPUTE_PGM_RSRC2:TGID_X_EN: 1
; COMPUTE_PGM_RSRC2:TGID_Y_EN: 0
; COMPUTE_PGM_RSRC2:TGID_Z_EN: 0
; COMPUTE_PGM_RSRC2:TIDIG_COMP_CNT: 0
	.section	.text._Z9sort_keysILj256ELj11EdN10test_utils4lessEEvPT1_T2_,"axG",@progbits,_Z9sort_keysILj256ELj11EdN10test_utils4lessEEvPT1_T2_,comdat
	.protected	_Z9sort_keysILj256ELj11EdN10test_utils4lessEEvPT1_T2_ ; -- Begin function _Z9sort_keysILj256ELj11EdN10test_utils4lessEEvPT1_T2_
	.globl	_Z9sort_keysILj256ELj11EdN10test_utils4lessEEvPT1_T2_
	.p2align	8
	.type	_Z9sort_keysILj256ELj11EdN10test_utils4lessEEvPT1_T2_,@function
_Z9sort_keysILj256ELj11EdN10test_utils4lessEEvPT1_T2_: ; @_Z9sort_keysILj256ELj11EdN10test_utils4lessEEvPT1_T2_
; %bb.0:
	s_load_b64 s[0:1], s[0:1], 0x0
	s_bfe_u32 s2, ttmp6, 0x4000c
	s_and_b32 s3, ttmp6, 15
	s_add_co_i32 s2, s2, 1
	s_getreg_b32 s4, hwreg(HW_REG_IB_STS2, 6, 4)
	s_mul_i32 s2, ttmp9, s2
	v_mul_u32_u24_e32 v38, 11, v0
	s_add_co_i32 s3, s3, s2
	s_cmp_eq_u32 s4, 0
	s_cselect_b32 s2, ttmp9, s3
	s_mov_b32 s3, 0
	s_mulk_i32 s2, 0xb00
	v_lshlrev_b32_e32 v39, 3, v38
	s_lshl_b64 s[2:3], s[2:3], 3
	s_wait_kmcnt 0x0
	s_add_nc_u64 s[6:7], s[0:1], s[2:3]
	s_clause 0x5
	global_load_b128 v[0:3], v39, s[6:7]
	global_load_b128 v[4:7], v39, s[6:7] offset:16
	global_load_b128 v[8:11], v39, s[6:7] offset:32
	;; [unrolled: 1-line block ×4, first 2 shown]
	global_load_b64 v[20:21], v38, s[6:7] offset:80 scale_offset
	s_wait_loadcnt 0x5
	v_cmp_lt_f64_e32 vcc_lo, v[2:3], v[0:1]
	s_wait_loadcnt 0x4
	v_cmp_lt_f64_e64 s0, v[6:7], v[4:5]
	s_wait_loadcnt 0x3
	v_cmp_lt_f64_e64 s1, v[10:11], v[8:9]
	s_wait_loadcnt 0x2
	v_cmp_lt_f64_e64 s2, v[14:15], v[12:13]
	s_wait_loadcnt 0x1
	v_cmp_lt_f64_e64 s3, v[18:19], v[16:17]
	v_cndmask_b32_e32 v33, v3, v1, vcc_lo
	v_dual_cndmask_b32 v25, v7, v5, s0 :: v_dual_cndmask_b32 v32, v2, v0, vcc_lo
	v_dual_cndmask_b32 v27, v11, v9, s1 :: v_dual_cndmask_b32 v24, v6, v4, s0
	v_dual_cndmask_b32 v29, v15, v13, s2 :: v_dual_cndmask_b32 v5, v5, v7, s0
	;; [unrolled: 1-line block ×7, first 2 shown]
	v_cndmask_b32_e64 v30, v18, v16, s3
	v_cmp_lt_f64_e64 s0, v[4:5], v[32:33]
	v_cmp_lt_f64_e64 s1, v[6:7], v[24:25]
	;; [unrolled: 1-line block ×4, first 2 shown]
	s_wait_loadcnt 0x0
	v_cmp_lt_f64_e64 s4, v[20:21], v[30:31]
	v_dual_cndmask_b32 v23, v1, v3 :: v_dual_cndmask_b32 v22, v0, v2
	v_cndmask_b32_e64 v1, v5, v33, s0
	v_dual_cndmask_b32 v3, v7, v25, s1 :: v_dual_cndmask_b32 v13, v9, v27, s2
	s_delay_alu instid0(VALU_DEP_4)
	v_dual_cndmask_b32 v15, v11, v29, s3 :: v_dual_cndmask_b32 v17, v21, v31, s4
	v_dual_cndmask_b32 v0, v4, v32, s0 :: v_dual_cndmask_b32 v5, v33, v5, s0
	;; [unrolled: 1-line block ×8, first 2 shown]
	v_cmp_lt_f64_e32 vcc_lo, v[4:5], v[22:23]
	v_cmp_lt_f64_e64 s0, v[6:7], v[0:1]
	s_delay_alu instid0(VALU_DEP_4)
	v_cmp_lt_f64_e64 s2, v[18:19], v[12:13]
	v_cmp_lt_f64_e64 s1, v[8:9], v[2:3]
	;; [unrolled: 1-line block ×3, first 2 shown]
	v_dual_cndmask_b32 v16, v20, v30, s4 :: v_dual_cndmask_b32 v20, v22, v4, vcc_lo
	v_dual_cndmask_b32 v25, v7, v1, s0 :: v_dual_cndmask_b32 v33, v5, v23, vcc_lo
	;; [unrolled: 1-line block ×3, first 2 shown]
	s_delay_alu instid0(VALU_DEP_4) | instskip(SKIP_3) | instid1(VALU_DEP_3)
	v_dual_cndmask_b32 v31, v11, v15, s3 :: v_dual_cndmask_b32 v24, v6, v0, s0
	v_dual_cndmask_b32 v1, v1, v7, s0 :: v_dual_cndmask_b32 v0, v0, v6, s0
	v_dual_cndmask_b32 v21, v23, v5, vcc_lo :: v_dual_cndmask_b32 v27, v9, v3, s1
	v_dual_cndmask_b32 v26, v8, v2, s1 :: v_dual_cndmask_b32 v3, v3, v9, s1
	v_cmp_lt_f64_e64 s0, v[0:1], v[32:33]
	v_dual_cndmask_b32 v2, v2, v8, s1 :: v_dual_cndmask_b32 v7, v13, v19, s2
	v_dual_cndmask_b32 v6, v12, v18, s2 :: v_dual_cndmask_b32 v28, v18, v12, s2
	;; [unrolled: 1-line block ×3, first 2 shown]
	s_delay_alu instid0(VALU_DEP_3) | instskip(NEXT) | instid1(VALU_DEP_3)
	v_cmp_lt_f64_e64 s1, v[2:3], v[24:25]
	v_cmp_lt_f64_e64 s2, v[6:7], v[26:27]
	v_cndmask_b32_e64 v30, v10, v14, s3
	s_delay_alu instid0(VALU_DEP_4) | instskip(SKIP_1) | instid1(VALU_DEP_3)
	v_cmp_lt_f64_e64 s3, v[8:9], v[28:29]
	v_cndmask_b32_e64 v5, v1, v33, s0
	v_cmp_lt_f64_e64 s4, v[16:17], v[30:31]
	v_dual_cndmask_b32 v4, v0, v32, s0 :: v_dual_cndmask_b32 v1, v33, v1, s0
	v_dual_cndmask_b32 v0, v32, v0, s0 :: v_dual_cndmask_b32 v11, v3, v25, s1
	;; [unrolled: 1-line block ×6, first 2 shown]
	v_cmp_lt_f64_e32 vcc_lo, v[0:1], v[20:21]
	s_delay_alu instid0(VALU_DEP_4) | instskip(SKIP_4) | instid1(VALU_DEP_4)
	v_cmp_lt_f64_e64 s0, v[2:3], v[4:5]
	v_dual_cndmask_b32 v22, v28, v8, s3 :: v_dual_cndmask_b32 v15, v9, v29, s3
	v_dual_cndmask_b32 v14, v8, v28, s3 :: v_dual_cndmask_b32 v19, v17, v31, s4
	v_cmp_lt_f64_e64 s1, v[6:7], v[10:11]
	v_cndmask_b32_e64 v9, v31, v17, s4
	v_cmp_lt_f64_e64 s2, v[22:23], v[12:13]
	v_dual_cndmask_b32 v8, v30, v16, s4 :: v_dual_cndmask_b32 v17, v21, v1, vcc_lo
	v_cndmask_b32_e64 v25, v3, v5, s0
	s_delay_alu instid0(VALU_DEP_2) | instskip(SKIP_3) | instid1(VALU_DEP_1)
	v_cmp_lt_f64_e64 s3, v[8:9], v[14:15]
	v_dual_cndmask_b32 v33, v1, v21 :: v_dual_cndmask_b32 v32, v0, v20
	v_dual_cndmask_b32 v3, v5, v3, s0 :: v_dual_cndmask_b32 v24, v2, v4, s0
	v_cndmask_b32_e64 v2, v4, v2, s0
	v_cmp_lt_f64_e64 s0, v[2:3], v[32:33]
	v_dual_cndmask_b32 v18, v16, v30, s4 :: v_dual_cndmask_b32 v27, v7, v11, s1
	v_dual_cndmask_b32 v26, v6, v10, s1 :: v_dual_cndmask_b32 v5, v11, v7, s1
	v_dual_cndmask_b32 v4, v10, v6, s1 :: v_dual_cndmask_b32 v7, v13, v23, s2
	v_dual_cndmask_b32 v29, v23, v13, s2 :: v_dual_cndmask_b32 v6, v12, v22, s2
	v_cndmask_b32_e64 v28, v22, v12, s2
	s_delay_alu instid0(VALU_DEP_3) | instskip(NEXT) | instid1(VALU_DEP_3)
	v_cmp_lt_f64_e64 s1, v[4:5], v[24:25]
	v_cmp_lt_f64_e64 s2, v[6:7], v[26:27]
	v_dual_cndmask_b32 v16, v20, v0, vcc_lo :: v_dual_cndmask_b32 v31, v9, v15, s3
	v_dual_cndmask_b32 v11, v15, v9, s3 :: v_dual_cndmask_b32 v10, v14, v8, s3
	v_cndmask_b32_e64 v30, v8, v14, s3
	s_delay_alu instid0(VALU_DEP_2)
	v_cmp_lt_f64_e64 s3, v[10:11], v[28:29]
	v_dual_cndmask_b32 v1, v3, v33, s0 :: v_dual_cndmask_b32 v0, v2, v32, s0
	v_dual_cndmask_b32 v3, v33, v3, s0 :: v_dual_cndmask_b32 v2, v32, v2, s0
	v_cndmask_b32_e64 v9, v5, v25, s1
	v_cmp_lt_f64_e64 s4, v[18:19], v[30:31]
	v_dual_cndmask_b32 v8, v4, v24, s1 :: v_dual_cndmask_b32 v13, v7, v27, s2
	v_dual_cndmask_b32 v5, v25, v5, s1 :: v_dual_cndmask_b32 v4, v24, v4, s1
	;; [unrolled: 1-line block ×3, first 2 shown]
	v_cndmask_b32_e64 v6, v26, v6, s2
	v_cmp_lt_f64_e32 vcc_lo, v[2:3], v[16:17]
	s_delay_alu instid0(VALU_DEP_4) | instskip(SKIP_3) | instid1(VALU_DEP_2)
	v_cmp_lt_f64_e64 s0, v[4:5], v[0:1]
	v_dual_cndmask_b32 v15, v11, v29, s3 :: v_dual_cndmask_b32 v23, v29, v11, s3
	v_dual_cndmask_b32 v22, v28, v10, s3 :: v_dual_cndmask_b32 v14, v10, v28, s3
	v_cmp_lt_f64_e64 s1, v[6:7], v[8:9]
	v_cmp_lt_f64_e64 s2, v[22:23], v[12:13]
	v_cndmask_b32_e64 v21, v19, v31, s4
	v_dual_cndmask_b32 v11, v31, v19, s4 :: v_dual_cndmask_b32 v10, v30, v18, s4
	s_delay_alu instid0(VALU_DEP_1)
	v_cmp_lt_f64_e64 s3, v[10:11], v[14:15]
	v_dual_cndmask_b32 v33, v3, v17, vcc_lo :: v_dual_cndmask_b32 v24, v4, v0, s0
	v_dual_cndmask_b32 v25, v5, v1, s0 :: v_dual_cndmask_b32 v32, v2, v16, vcc_lo
	v_dual_cndmask_b32 v1, v1, v5, s0 :: v_dual_cndmask_b32 v0, v0, v4, s0
	v_dual_cndmask_b32 v19, v17, v3, vcc_lo :: v_dual_cndmask_b32 v27, v7, v9, s1
	v_dual_cndmask_b32 v26, v6, v8, s1 :: v_dual_cndmask_b32 v5, v9, v7, s1
	v_dual_cndmask_b32 v29, v23, v13, s2 :: v_dual_cndmask_b32 v4, v8, v6, s1
	v_cndmask_b32_e64 v7, v13, v23, s2
	v_cmp_lt_f64_e64 s0, v[0:1], v[32:33]
	v_dual_cndmask_b32 v6, v12, v22, s2 :: v_dual_cndmask_b32 v28, v22, v12, s2
	v_cndmask_b32_e64 v20, v18, v30, s4
	s_delay_alu instid0(VALU_DEP_2) | instskip(SKIP_4) | instid1(VALU_DEP_2)
	v_cmp_lt_f64_e64 s2, v[6:7], v[26:27]
	v_dual_cndmask_b32 v18, v16, v2, vcc_lo :: v_dual_cndmask_b32 v31, v11, v15, s3
	v_cmp_lt_f64_e64 s1, v[4:5], v[24:25]
	v_dual_cndmask_b32 v9, v15, v11, s3 :: v_dual_cndmask_b32 v8, v14, v10, s3
	v_cndmask_b32_e64 v30, v10, v14, s3
	v_cmp_lt_f64_e64 s3, v[8:9], v[28:29]
	v_dual_cndmask_b32 v3, v1, v33, s0 :: v_dual_cndmask_b32 v2, v0, v32, s0
	v_dual_cndmask_b32 v1, v33, v1, s0 :: v_dual_cndmask_b32 v0, v32, v0, s0
	;; [unrolled: 1-line block ×4, first 2 shown]
	v_cndmask_b32_e64 v11, v5, v25, s1
	v_cmp_lt_f64_e64 s4, v[20:21], v[30:31]
	v_dual_cndmask_b32 v10, v4, v24, s1 :: v_dual_cndmask_b32 v5, v25, v5, s1
	v_cndmask_b32_e64 v4, v24, v4, s1
	v_cmp_lt_f64_e32 vcc_lo, v[0:1], v[18:19]
	v_cndmask_b32_e64 v15, v9, v29, s3
	v_cndmask_b32_e64 v23, v29, v9, s3
	s_delay_alu instid0(VALU_DEP_4) | instskip(SKIP_4) | instid1(VALU_DEP_3)
	v_cmp_lt_f64_e64 s0, v[4:5], v[2:3]
	v_cmp_lt_f64_e64 s1, v[6:7], v[10:11]
	v_cndmask_b32_e64 v22, v28, v8, s3
	v_dual_cndmask_b32 v14, v8, v28, s3 :: v_dual_cndmask_b32 v17, v21, v31, s4
	v_dual_cndmask_b32 v9, v31, v21, s4 :: v_dual_cndmask_b32 v8, v30, v20, s4
	v_cmp_lt_f64_e64 s2, v[22:23], v[12:13]
	v_dual_cndmask_b32 v21, v19, v1, vcc_lo :: v_dual_cndmask_b32 v33, v1, v19, vcc_lo
	v_cndmask_b32_e32 v32, v0, v18, vcc_lo
	v_dual_cndmask_b32 v16, v20, v30, s4 :: v_dual_cndmask_b32 v20, v18, v0, vcc_lo
	v_cndmask_b32_e64 v25, v5, v3, s0
	v_cmp_lt_f64_e64 s3, v[8:9], v[14:15]
	v_dual_cndmask_b32 v27, v7, v11, s1 :: v_dual_cndmask_b32 v24, v4, v2, s0
	v_dual_cndmask_b32 v3, v3, v5, s0 :: v_dual_cndmask_b32 v2, v2, v4, s0
	;; [unrolled: 1-line block ×3, first 2 shown]
	v_cndmask_b32_e64 v4, v10, v6, s1
	s_delay_alu instid0(VALU_DEP_3) | instskip(SKIP_2) | instid1(VALU_DEP_4)
	v_cmp_lt_f64_e64 s0, v[2:3], v[32:33]
	v_dual_cndmask_b32 v29, v23, v13, s2 :: v_dual_cndmask_b32 v28, v22, v12, s2
	v_dual_cndmask_b32 v6, v12, v22, s2 :: v_dual_cndmask_b32 v7, v13, v23, s2
	v_cmp_lt_f64_e64 s1, v[4:5], v[24:25]
	v_dual_cndmask_b32 v31, v9, v15, s3 :: v_dual_cndmask_b32 v11, v15, v9, s3
	v_dual_cndmask_b32 v10, v14, v8, s3 :: v_dual_cndmask_b32 v30, v8, v14, s3
	s_delay_alu instid0(VALU_DEP_4) | instskip(NEXT) | instid1(VALU_DEP_2)
	v_cmp_lt_f64_e64 s2, v[6:7], v[26:27]
	v_cmp_lt_f64_e64 s3, v[10:11], v[28:29]
	v_cndmask_b32_e64 v9, v3, v33, s0
	s_delay_alu instid0(VALU_DEP_4) | instskip(SKIP_4) | instid1(VALU_DEP_3)
	v_cmp_lt_f64_e64 s4, v[16:17], v[30:31]
	v_dual_cndmask_b32 v8, v2, v32, s0 :: v_dual_cndmask_b32 v1, v33, v3, s0
	v_dual_cndmask_b32 v0, v32, v2, s0 :: v_dual_cndmask_b32 v13, v5, v25, s1
	v_dual_cndmask_b32 v12, v4, v24, s1 :: v_dual_cndmask_b32 v5, v25, v5, s1
	v_cndmask_b32_e64 v4, v24, v4, s1
	v_cmp_lt_f64_e32 vcc_lo, v[0:1], v[20:21]
	v_dual_cndmask_b32 v23, v7, v27, s2 :: v_dual_cndmask_b32 v22, v6, v26, s2
	v_cndmask_b32_e64 v25, v27, v7, s2
	v_dual_cndmask_b32 v35, v11, v29, s3 :: v_dual_cndmask_b32 v24, v26, v6, s2
	v_dual_cndmask_b32 v27, v29, v11, s3 :: v_dual_cndmask_b32 v34, v10, v28, s3
	;; [unrolled: 1-line block ×4, first 2 shown]
	v_cmp_lt_f64_e64 s0, v[4:5], v[8:9]
	v_cmp_lt_f64_e64 s1, v[24:25], v[12:13]
	s_delay_alu instid0(VALU_DEP_4) | instskip(NEXT) | instid1(VALU_DEP_4)
	v_cmp_lt_f64_e64 s2, v[26:27], v[22:23]
	v_cmp_lt_f64_e64 s3, v[28:29], v[34:35]
	v_dual_cndmask_b32 v36, v16, v30, s4 :: v_dual_cndmask_b32 v3, v1, v21, vcc_lo
	v_dual_cndmask_b32 v1, v21, v1 :: v_dual_cndmask_b32 v2, v0, v20
	v_dual_cndmask_b32 v0, v20, v0, vcc_lo :: v_dual_cndmask_b32 v7, v5, v9, s0
	v_dual_cndmask_b32 v6, v4, v8, s0 :: v_dual_cndmask_b32 v5, v9, v5, s0
	v_dual_cndmask_b32 v10, v24, v12, s1 :: v_dual_cndmask_b32 v19, v29, v35, s3
	;; [unrolled: 1-line block ×7, first 2 shown]
	v_cndmask_b32_e64 v16, v34, v28, s3
	s_clause 0x5
	global_store_b128 v39, v[4:7], s[6:7] offset:16
	global_store_b128 v39, v[8:11], s[6:7] offset:32
	;; [unrolled: 1-line block ×4, first 2 shown]
	global_store_b128 v39, v[0:3], s[6:7]
	global_store_b64 v38, v[36:37], s[6:7] offset:80 scale_offset
	s_endpgm
	.section	.rodata,"a",@progbits
	.p2align	6, 0x0
	.amdhsa_kernel _Z9sort_keysILj256ELj11EdN10test_utils4lessEEvPT1_T2_
		.amdhsa_group_segment_fixed_size 0
		.amdhsa_private_segment_fixed_size 0
		.amdhsa_kernarg_size 12
		.amdhsa_user_sgpr_count 2
		.amdhsa_user_sgpr_dispatch_ptr 0
		.amdhsa_user_sgpr_queue_ptr 0
		.amdhsa_user_sgpr_kernarg_segment_ptr 1
		.amdhsa_user_sgpr_dispatch_id 0
		.amdhsa_user_sgpr_kernarg_preload_length 0
		.amdhsa_user_sgpr_kernarg_preload_offset 0
		.amdhsa_user_sgpr_private_segment_size 0
		.amdhsa_wavefront_size32 1
		.amdhsa_uses_dynamic_stack 0
		.amdhsa_enable_private_segment 0
		.amdhsa_system_sgpr_workgroup_id_x 1
		.amdhsa_system_sgpr_workgroup_id_y 0
		.amdhsa_system_sgpr_workgroup_id_z 0
		.amdhsa_system_sgpr_workgroup_info 0
		.amdhsa_system_vgpr_workitem_id 0
		.amdhsa_next_free_vgpr 40
		.amdhsa_next_free_sgpr 8
		.amdhsa_named_barrier_count 0
		.amdhsa_reserve_vcc 1
		.amdhsa_float_round_mode_32 0
		.amdhsa_float_round_mode_16_64 0
		.amdhsa_float_denorm_mode_32 3
		.amdhsa_float_denorm_mode_16_64 3
		.amdhsa_fp16_overflow 0
		.amdhsa_memory_ordered 1
		.amdhsa_forward_progress 1
		.amdhsa_inst_pref_size 17
		.amdhsa_round_robin_scheduling 0
		.amdhsa_exception_fp_ieee_invalid_op 0
		.amdhsa_exception_fp_denorm_src 0
		.amdhsa_exception_fp_ieee_div_zero 0
		.amdhsa_exception_fp_ieee_overflow 0
		.amdhsa_exception_fp_ieee_underflow 0
		.amdhsa_exception_fp_ieee_inexact 0
		.amdhsa_exception_int_div_zero 0
	.end_amdhsa_kernel
	.section	.text._Z9sort_keysILj256ELj11EdN10test_utils4lessEEvPT1_T2_,"axG",@progbits,_Z9sort_keysILj256ELj11EdN10test_utils4lessEEvPT1_T2_,comdat
.Lfunc_end3:
	.size	_Z9sort_keysILj256ELj11EdN10test_utils4lessEEvPT1_T2_, .Lfunc_end3-_Z9sort_keysILj256ELj11EdN10test_utils4lessEEvPT1_T2_
                                        ; -- End function
	.set _Z9sort_keysILj256ELj11EdN10test_utils4lessEEvPT1_T2_.num_vgpr, 40
	.set _Z9sort_keysILj256ELj11EdN10test_utils4lessEEvPT1_T2_.num_agpr, 0
	.set _Z9sort_keysILj256ELj11EdN10test_utils4lessEEvPT1_T2_.numbered_sgpr, 8
	.set _Z9sort_keysILj256ELj11EdN10test_utils4lessEEvPT1_T2_.num_named_barrier, 0
	.set _Z9sort_keysILj256ELj11EdN10test_utils4lessEEvPT1_T2_.private_seg_size, 0
	.set _Z9sort_keysILj256ELj11EdN10test_utils4lessEEvPT1_T2_.uses_vcc, 1
	.set _Z9sort_keysILj256ELj11EdN10test_utils4lessEEvPT1_T2_.uses_flat_scratch, 0
	.set _Z9sort_keysILj256ELj11EdN10test_utils4lessEEvPT1_T2_.has_dyn_sized_stack, 0
	.set _Z9sort_keysILj256ELj11EdN10test_utils4lessEEvPT1_T2_.has_recursion, 0
	.set _Z9sort_keysILj256ELj11EdN10test_utils4lessEEvPT1_T2_.has_indirect_call, 0
	.section	.AMDGPU.csdata,"",@progbits
; Kernel info:
; codeLenInByte = 2092
; TotalNumSgprs: 10
; NumVgprs: 40
; ScratchSize: 0
; MemoryBound: 0
; FloatMode: 240
; IeeeMode: 1
; LDSByteSize: 0 bytes/workgroup (compile time only)
; SGPRBlocks: 0
; VGPRBlocks: 2
; NumSGPRsForWavesPerEU: 10
; NumVGPRsForWavesPerEU: 40
; NamedBarCnt: 0
; Occupancy: 16
; WaveLimiterHint : 0
; COMPUTE_PGM_RSRC2:SCRATCH_EN: 0
; COMPUTE_PGM_RSRC2:USER_SGPR: 2
; COMPUTE_PGM_RSRC2:TRAP_HANDLER: 0
; COMPUTE_PGM_RSRC2:TGID_X_EN: 1
; COMPUTE_PGM_RSRC2:TGID_Y_EN: 0
; COMPUTE_PGM_RSRC2:TGID_Z_EN: 0
; COMPUTE_PGM_RSRC2:TIDIG_COMP_CNT: 0
	.section	.text._Z9sort_keysILj256ELj10EhN10test_utils4lessEEvPT1_T2_,"axG",@progbits,_Z9sort_keysILj256ELj10EhN10test_utils4lessEEvPT1_T2_,comdat
	.protected	_Z9sort_keysILj256ELj10EhN10test_utils4lessEEvPT1_T2_ ; -- Begin function _Z9sort_keysILj256ELj10EhN10test_utils4lessEEvPT1_T2_
	.globl	_Z9sort_keysILj256ELj10EhN10test_utils4lessEEvPT1_T2_
	.p2align	8
	.type	_Z9sort_keysILj256ELj10EhN10test_utils4lessEEvPT1_T2_,@function
_Z9sort_keysILj256ELj10EhN10test_utils4lessEEvPT1_T2_: ; @_Z9sort_keysILj256ELj10EhN10test_utils4lessEEvPT1_T2_
; %bb.0:
	s_load_b64 s[0:1], s[0:1], 0x0
	s_bfe_u32 s2, ttmp6, 0x4000c
	s_and_b32 s3, ttmp6, 15
	s_add_co_i32 s2, s2, 1
	s_getreg_b32 s4, hwreg(HW_REG_IB_STS2, 6, 4)
	s_mul_i32 s2, ttmp9, s2
	v_mul_u32_u24_e32 v2, 10, v0
	s_add_co_i32 s2, s3, s2
	s_cmp_eq_u32 s4, 0
	s_mov_b32 s3, 0
	s_cselect_b32 s2, ttmp9, s2
	s_delay_alu instid0(SALU_CYCLE_1)
	s_mulk_i32 s2, 0xa00
	s_wait_kmcnt 0x0
	s_add_nc_u64 s[2:3], s[0:1], s[2:3]
	s_clause 0x1
	global_load_b64 v[0:1], v2, s[2:3]
	global_load_u16 v3, v2, s[2:3] offset:8
	s_wait_loadcnt 0x1
	v_dual_lshrrev_b32 v4, 8, v0 :: v_dual_lshrrev_b32 v6, 24, v0
	v_lshlrev_b16 v8, 8, v0
	s_delay_alu instid0(VALU_DEP_2) | instskip(NEXT) | instid1(VALU_DEP_3)
	v_lshlrev_b16 v5, 8, v4
	v_lshlrev_b16 v6, 8, v6
	s_delay_alu instid0(VALU_DEP_3) | instskip(NEXT) | instid1(VALU_DEP_3)
	v_bitop3_b16 v4, v4, v8, 0xff bitop3:0xec
	v_bitop3_b16 v7, v0, v5, 0xff bitop3:0xec
	s_delay_alu instid0(VALU_DEP_2) | instskip(NEXT) | instid1(VALU_DEP_2)
	v_and_b32_e32 v4, 0xffff, v4
	v_and_b32_e32 v7, 0xffff, v7
	v_lshrrev_b32_e32 v9, 16, v0
	v_bitop3_b16 v0, v0, 0xff, v5 bitop3:0xc8
	s_delay_alu instid0(VALU_DEP_3) | instskip(NEXT) | instid1(VALU_DEP_3)
	v_lshrrev_b32_e32 v5, 8, v7
	v_bitop3_b16 v8, v9, v6, 0xff bitop3:0xec
	v_bitop3_b16 v6, v9, 0xff, v6 bitop3:0xc8
	v_lshrrev_b32_e32 v9, 8, v1
	s_delay_alu instid0(VALU_DEP_4) | instskip(NEXT) | instid1(VALU_DEP_4)
	v_cmp_lt_u16_e32 vcc_lo, v5, v0
	v_lshlrev_b32_e32 v10, 16, v8
	v_perm_b32 v8, 0, v8, 0xc0c0001
	v_cndmask_b32_e32 v4, v7, v4, vcc_lo
	s_delay_alu instid0(VALU_DEP_2) | instskip(NEXT) | instid1(VALU_DEP_2)
	v_dual_lshlrev_b32 v7, 16, v8 :: v_dual_lshrrev_b32 v8, 24, v10
	v_or_b32_e32 v4, v4, v10
	v_and_b32_e32 v10, 0xff, v1
	s_delay_alu instid0(VALU_DEP_3) | instskip(SKIP_1) | instid1(VALU_DEP_4)
	v_min_u16 v11, v8, v6
	v_cmp_lt_u16_e32 vcc_lo, v8, v6
	v_and_or_b32 v7, 0xffff, v4, v7
	v_and_b32_e32 v6, 0xff, v9
	v_max_u16 v8, v5, v0
	v_lshlrev_b16 v9, 8, v11
	v_min_u16 v0, v5, v0
	v_cndmask_b32_e32 v4, v4, v7, vcc_lo
	v_perm_b32 v7, v1, v1, 0x7060405
	v_cmp_lt_u16_e32 vcc_lo, v6, v10
	s_delay_alu instid0(VALU_DEP_2) | instskip(SKIP_1) | instid1(VALU_DEP_2)
	v_dual_cndmask_b32 v1, v1, v7 :: v_dual_lshrrev_b32 v12, 16, v4
	v_bitop3_b16 v6, v4, v9, 0xff bitop3:0xec
	v_lshrrev_b32_e32 v9, 16, v1
	s_delay_alu instid0(VALU_DEP_3) | instskip(NEXT) | instid1(VALU_DEP_3)
	v_bitop3_b16 v7, v8, v12, 0xff00 bitop3:0xf8
	v_and_b32_e32 v6, 0xffff, v6
	v_lshrrev_b32_e32 v10, 24, v1
	v_perm_b32 v12, v1, v1, 0x6070504
	v_and_b32_e32 v9, 0xff, v9
	v_lshlrev_b32_e32 v7, 16, v7
	s_delay_alu instid0(VALU_DEP_2) | instskip(NEXT) | instid1(VALU_DEP_2)
	v_cmp_lt_u16_e32 vcc_lo, v10, v9
	v_or_b32_e32 v6, v6, v7
	s_wait_loadcnt 0x0
	v_lshlrev_b16 v10, 8, v3
	v_dual_lshrrev_b32 v9, 8, v3 :: v_dual_cndmask_b32 v1, v1, v12, vcc_lo
	v_cmp_lt_u16_e32 vcc_lo, v11, v8
	v_cndmask_b32_e32 v4, v4, v6, vcc_lo
	s_delay_alu instid0(VALU_DEP_3) | instskip(NEXT) | instid1(VALU_DEP_2)
	v_lshlrev_b16 v6, 8, v1
	v_lshrrev_b32_e32 v7, 16, v4
	v_perm_b32 v5, v4, v1, 0x3020107
	s_delay_alu instid0(VALU_DEP_2) | instskip(SKIP_3) | instid1(VALU_DEP_4)
	v_bitop3_b16 v6, v7, v6, 0xff bitop3:0xec
	v_lshlrev_b16 v7, 8, v9
	v_bitop3_b16 v9, v9, v10, 0xff bitop3:0xec
	v_and_b32_e32 v10, 0xff, v1
	v_lshlrev_b32_e32 v6, 16, v6
	s_delay_alu instid0(VALU_DEP_4) | instskip(SKIP_1) | instid1(VALU_DEP_3)
	v_bitop3_b16 v3, v3, v7, 0xff bitop3:0xec
	v_and_b32_e32 v7, 0xffff, v7
	v_and_or_b32 v6, 0xffff, v4, v6
	v_lshrrev_b32_e32 v12, 24, v4
	s_delay_alu instid0(VALU_DEP_1) | instskip(SKIP_4) | instid1(VALU_DEP_3)
	v_cmp_lt_u16_e32 vcc_lo, v10, v12
	v_min_u16 v10, v11, v8
	v_lshlrev_b16 v12, 8, v0
	v_dual_cndmask_b32 v1, v1, v5 :: v_dual_cndmask_b32 v4, v4, v6
	v_and_b32_e32 v5, 0xffff, v9
	v_dual_lshrrev_b32 v6, 8, v7 :: v_dual_bitop2_b32 v7, v10, v12 bitop3:0x54
	s_delay_alu instid0(VALU_DEP_3)
	v_lshrrev_b32_e32 v12, 16, v1
	v_and_b32_e32 v9, 0xff, v3
	v_perm_b32 v14, v1, v1, 0x7050604
	v_lshrrev_b32_e32 v13, 8, v1
	v_and_b32_e32 v3, 0xffff, v3
	v_and_b32_e32 v12, 0xff, v12
	v_cmp_lt_u16_e32 vcc_lo, v6, v9
	v_and_b32_e32 v7, 0xffff, v7
	v_and_b32_e32 v13, 0xff, v13
	v_max_u16 v6, v11, v8
	v_cndmask_b32_e32 v3, v3, v5, vcc_lo
	s_delay_alu instid0(VALU_DEP_4) | instskip(NEXT) | instid1(VALU_DEP_4)
	v_and_or_b32 v5, 0xffff0000, v4, v7
	v_cmp_lt_u16_e32 vcc_lo, v12, v13
	s_delay_alu instid0(VALU_DEP_4) | instskip(SKIP_4) | instid1(VALU_DEP_4)
	v_lshlrev_b16 v8, 8, v6
	v_cndmask_b32_e32 v1, v1, v14, vcc_lo
	v_cmp_lt_u16_e32 vcc_lo, v11, v0
	v_cndmask_b32_e32 v4, v4, v5, vcc_lo
	v_lshlrev_b16 v5, 8, v3
	v_lshrrev_b32_e32 v7, 16, v1
	v_and_b32_e32 v12, 0xff, v3
	s_delay_alu instid0(VALU_DEP_4) | instskip(NEXT) | instid1(VALU_DEP_3)
	v_dual_lshrrev_b32 v9, 24, v4 :: v_dual_lshrrev_b32 v11, 24, v1
	v_bitop3_b16 v5, v7, v5, 0xff bitop3:0xec
	s_delay_alu instid0(VALU_DEP_2) | instskip(NEXT) | instid1(VALU_DEP_3)
	v_or_b32_e32 v7, v9, v8
	v_bitop3_b16 v8, v11, v3, 0xff00 bitop3:0xf8
	s_delay_alu instid0(VALU_DEP_3) | instskip(SKIP_1) | instid1(VALU_DEP_4)
	v_lshlrev_b32_e32 v5, 16, v5
	v_cmp_lt_u16_e64 s0, v12, v11
	v_lshlrev_b32_e32 v7, 16, v7
	s_delay_alu instid0(VALU_DEP_4) | instskip(NEXT) | instid1(VALU_DEP_4)
	v_and_b32_e32 v8, 0xffff, v8
	v_and_or_b32 v5, 0xffff, v1, v5
	s_delay_alu instid0(VALU_DEP_3) | instskip(NEXT) | instid1(VALU_DEP_2)
	v_and_or_b32 v7, 0xffff, v4, v7
	v_dual_cndmask_b32 v3, v3, v8, s0 :: v_dual_cndmask_b32 v1, v1, v5, s0
	v_cmp_lt_u16_e64 s0, v9, v6
	v_min_u16 v5, v9, v6
	s_delay_alu instid0(VALU_DEP_3) | instskip(NEXT) | instid1(VALU_DEP_3)
	v_perm_b32 v14, 0, v3, 0xc0c0001
	v_dual_lshrrev_b32 v6, 8, v1 :: v_dual_cndmask_b32 v4, v4, v7, s0
	v_and_b32_e32 v11, 0xff, v1
	v_perm_b32 v12, v1, v1, 0x7060405
	v_cndmask_b32_e32 v7, v10, v0, vcc_lo
	s_delay_alu instid0(VALU_DEP_4) | instskip(SKIP_2) | instid1(VALU_DEP_3)
	v_and_b32_e32 v6, 0xff, v6
	v_lshlrev_b16 v8, 8, v5
	v_cndmask_b32_e32 v0, v0, v10, vcc_lo
	v_cmp_lt_u16_e64 s0, v6, v11
	s_delay_alu instid0(VALU_DEP_3) | instskip(NEXT) | instid1(VALU_DEP_2)
	v_bitop3_b16 v8, v4, v8, 0xff bitop3:0xec
	v_cndmask_b32_e64 v1, v1, v12, s0
	v_lshrrev_b32_e32 v9, 16, v4
	s_delay_alu instid0(VALU_DEP_3) | instskip(NEXT) | instid1(VALU_DEP_3)
	v_and_b32_e32 v6, 0xffff, v8
	v_perm_b32 v11, v1, v1, 0x6070504
	s_delay_alu instid0(VALU_DEP_3) | instskip(NEXT) | instid1(VALU_DEP_1)
	v_bitop3_b16 v9, v7, v9, 0xff00 bitop3:0xf8
	v_lshlrev_b32_e32 v8, 16, v9
	v_lshrrev_b32_e32 v9, 16, v1
	v_cmp_lt_u16_e32 vcc_lo, v5, v7
	s_delay_alu instid0(VALU_DEP_3) | instskip(NEXT) | instid1(VALU_DEP_3)
	v_dual_lshrrev_b32 v8, 24, v1 :: v_dual_bitop2_b32 v6, v6, v8 bitop3:0x54
	v_and_b32_e32 v9, 0xff, v9
	s_delay_alu instid0(VALU_DEP_2) | instskip(SKIP_1) | instid1(VALU_DEP_3)
	v_cndmask_b32_e32 v4, v4, v6, vcc_lo
	v_lshlrev_b16 v6, 8, v0
	v_cmp_lt_u16_e32 vcc_lo, v8, v9
	s_delay_alu instid0(VALU_DEP_3) | instskip(SKIP_3) | instid1(VALU_DEP_4)
	v_dual_cndmask_b32 v1, v1, v11 :: v_dual_lshrrev_b32 v8, 24, v4
	v_lshrrev_b32_e32 v12, 16, v4
	v_min_u16 v11, v5, v7
	v_max_u16 v5, v5, v7
	v_and_b32_e32 v9, 0xff, v1
	v_perm_b32 v10, v4, v1, 0x3020107
	v_lshlrev_b16 v13, 8, v1
	s_delay_alu instid0(VALU_DEP_3) | instskip(SKIP_1) | instid1(VALU_DEP_3)
	v_cmp_lt_u16_e32 vcc_lo, v9, v8
	v_lshrrev_b32_e32 v8, 8, v3
	v_bitop3_b16 v9, v12, v13, 0xff bitop3:0xec
	v_cndmask_b32_e32 v1, v1, v10, vcc_lo
	v_and_b32_e32 v10, 0xff, v3
	s_delay_alu instid0(VALU_DEP_4) | instskip(NEXT) | instid1(VALU_DEP_3)
	v_and_b32_e32 v8, 0xff, v8
	v_dual_lshrrev_b32 v12, 16, v1 :: v_dual_bitop2_b32 v6, v11, v6 bitop3:0x54
	v_perm_b32 v15, v1, v1, 0x7050604
	s_delay_alu instid0(VALU_DEP_3) | instskip(SKIP_1) | instid1(VALU_DEP_4)
	v_cmp_lt_u16_e64 s0, v8, v10
	v_lshrrev_b32_e32 v13, 8, v1
	v_and_b32_e32 v6, 0xffff, v6
	v_and_b32_e32 v12, 0xff, v12
	s_delay_alu instid0(VALU_DEP_4) | instskip(NEXT) | instid1(VALU_DEP_4)
	v_cndmask_b32_e64 v3, v3, v14, s0
	v_and_b32_e32 v13, 0xff, v13
	s_delay_alu instid0(VALU_DEP_2) | instskip(NEXT) | instid1(VALU_DEP_2)
	v_lshlrev_b16 v8, 8, v3
	v_cmp_lt_u16_e64 s0, v12, v13
	v_lshlrev_b32_e32 v9, 16, v9
	v_and_b32_e32 v12, 0xff, v3
	s_delay_alu instid0(VALU_DEP_3) | instskip(NEXT) | instid1(VALU_DEP_3)
	v_cndmask_b32_e64 v1, v1, v15, s0
	v_and_or_b32 v9, 0xffff, v4, v9
	s_delay_alu instid0(VALU_DEP_2) | instskip(NEXT) | instid1(VALU_DEP_2)
	v_lshrrev_b32_e32 v7, 24, v1
	v_cndmask_b32_e32 v4, v4, v9, vcc_lo
	v_lshrrev_b32_e32 v9, 16, v1
	v_cmp_lt_u16_e32 vcc_lo, v11, v0
	s_delay_alu instid0(VALU_DEP_2) | instskip(SKIP_1) | instid1(VALU_DEP_2)
	v_bitop3_b16 v8, v9, v8, 0xff bitop3:0xec
	v_bitop3_b16 v9, v7, v3, 0xff00 bitop3:0xf8
	v_lshlrev_b32_e32 v8, 16, v8
	v_and_or_b32 v6, 0xffff0000, v4, v6
	s_delay_alu instid0(VALU_DEP_3) | instskip(NEXT) | instid1(VALU_DEP_3)
	v_and_b32_e32 v9, 0xffff, v9
	v_and_or_b32 v8, 0xffff, v1, v8
	s_delay_alu instid0(VALU_DEP_3) | instskip(SKIP_2) | instid1(VALU_DEP_3)
	v_cndmask_b32_e32 v4, v4, v6, vcc_lo
	v_lshlrev_b16 v6, 8, v5
	v_cmp_lt_u16_e32 vcc_lo, v12, v7
	v_dual_cndmask_b32 v3, v3, v9 :: v_dual_lshrrev_b32 v10, 24, v4
	s_delay_alu instid0(VALU_DEP_1) | instskip(SKIP_2) | instid1(VALU_DEP_3)
	v_dual_cndmask_b32 v1, v1, v8, vcc_lo :: v_dual_bitop2_b32 v6, v10, v6 bitop3:0x54
	v_cmp_lt_u16_e32 vcc_lo, v10, v5
	v_min_u16 v8, v10, v5
	v_and_b32_e32 v9, 0xff, v1
	s_delay_alu instid0(VALU_DEP_4) | instskip(NEXT) | instid1(VALU_DEP_3)
	v_lshlrev_b32_e32 v6, 16, v6
	v_lshlrev_b16 v10, 8, v8
	s_delay_alu instid0(VALU_DEP_2) | instskip(NEXT) | instid1(VALU_DEP_1)
	v_and_or_b32 v6, 0xffff, v4, v6
	v_dual_cndmask_b32 v4, v4, v6 :: v_dual_lshrrev_b32 v7, 8, v1
	s_delay_alu instid0(VALU_DEP_1)
	v_and_b32_e32 v5, 0xff, v7
	v_perm_b32 v6, v1, v1, 0x7060405
	v_max_u16 v7, v11, v0
	v_min_u16 v0, v11, v0
	v_lshrrev_b32_e32 v11, 8, v3
	v_cmp_lt_u16_e32 vcc_lo, v5, v9
	v_lshrrev_b32_e32 v12, 16, v4
	v_bitop3_b16 v5, v4, v10, 0xff bitop3:0xec
	s_delay_alu instid0(VALU_DEP_4) | instskip(SKIP_1) | instid1(VALU_DEP_4)
	v_and_b32_e32 v11, 0xff, v11
	v_cndmask_b32_e32 v1, v1, v6, vcc_lo
	v_bitop3_b16 v6, v7, v12, 0xff00 bitop3:0xf8
	s_delay_alu instid0(VALU_DEP_4) | instskip(NEXT) | instid1(VALU_DEP_2)
	v_and_b32_e32 v5, 0xffff, v5
	v_dual_lshrrev_b32 v9, 16, v1 :: v_dual_lshlrev_b32 v6, 16, v6
	v_lshrrev_b32_e32 v10, 24, v1
	v_perm_b32 v12, v1, v1, 0x6070504
	s_delay_alu instid0(VALU_DEP_3) | instskip(NEXT) | instid1(VALU_DEP_4)
	v_and_b32_e32 v9, 0xff, v9
	v_or_b32_e32 v5, v5, v6
	s_delay_alu instid0(VALU_DEP_2) | instskip(NEXT) | instid1(VALU_DEP_4)
	v_cmp_lt_u16_e32 vcc_lo, v10, v9
	v_cndmask_b32_e32 v1, v1, v12, vcc_lo
	v_cmp_lt_u16_e32 vcc_lo, v8, v7
	s_delay_alu instid0(VALU_DEP_4) | instskip(NEXT) | instid1(VALU_DEP_3)
	v_cndmask_b32_e32 v4, v4, v5, vcc_lo
	v_and_b32_e32 v6, 0xff, v1
	v_lshlrev_b16 v12, 8, v1
	v_lshlrev_b16 v5, 8, v0
	s_delay_alu instid0(VALU_DEP_4) | instskip(SKIP_1) | instid1(VALU_DEP_2)
	v_lshrrev_b32_e32 v9, 24, v4
	v_perm_b32 v10, v4, v1, 0x3020107
	v_cmp_lt_u16_e32 vcc_lo, v6, v9
	v_lshrrev_b32_e32 v13, 16, v4
	v_and_b32_e32 v6, 0xff, v3
	v_perm_b32 v9, 0, v3, 0xc0c0001
	v_cndmask_b32_e32 v1, v1, v10, vcc_lo
	s_delay_alu instid0(VALU_DEP_4) | instskip(SKIP_4) | instid1(VALU_DEP_4)
	v_bitop3_b16 v10, v13, v12, 0xff bitop3:0xec
	v_min_u16 v12, v8, v7
	v_cmp_lt_u16_e64 s0, v11, v6
	v_max_u16 v7, v8, v7
	v_dual_lshrrev_b32 v13, 16, v1 :: v_dual_lshrrev_b32 v14, 8, v1
	v_dual_lshlrev_b32 v10, 16, v10 :: v_dual_bitop2_b32 v5, v12, v5 bitop3:0x54
	v_perm_b32 v15, v1, v1, 0x7050604
	s_delay_alu instid0(VALU_DEP_3) | instskip(NEXT) | instid1(VALU_DEP_4)
	v_and_b32_e32 v13, 0xff, v13
	v_and_b32_e32 v14, 0xff, v14
	s_delay_alu instid0(VALU_DEP_4) | instskip(SKIP_2) | instid1(VALU_DEP_4)
	v_and_or_b32 v10, 0xffff, v4, v10
	v_cndmask_b32_e64 v3, v3, v9, s0
	v_and_b32_e32 v5, 0xffff, v5
	v_cmp_lt_u16_e64 s0, v13, v14
	s_delay_alu instid0(VALU_DEP_1) | instskip(NEXT) | instid1(VALU_DEP_4)
	v_dual_cndmask_b32 v1, v1, v15, s0 :: v_dual_cndmask_b32 v4, v4, v10, vcc_lo
	v_lshlrev_b16 v6, 8, v3
	v_cmp_lt_u16_e32 vcc_lo, v8, v0
	v_and_b32_e32 v11, 0xff, v3
	s_delay_alu instid0(VALU_DEP_4) | instskip(SKIP_1) | instid1(VALU_DEP_2)
	v_lshrrev_b32_e32 v9, 16, v1
	v_and_or_b32 v5, 0xffff0000, v4, v5
	v_bitop3_b16 v6, v9, v6, 0xff bitop3:0xec
	v_lshrrev_b32_e32 v10, 24, v1
	s_delay_alu instid0(VALU_DEP_3) | instskip(SKIP_1) | instid1(VALU_DEP_4)
	v_cndmask_b32_e32 v4, v4, v5, vcc_lo
	v_lshlrev_b16 v5, 8, v7
	v_lshlrev_b32_e32 v6, 16, v6
	s_delay_alu instid0(VALU_DEP_4) | instskip(NEXT) | instid1(VALU_DEP_4)
	v_bitop3_b16 v8, v10, v3, 0xff00 bitop3:0xf8
	v_lshrrev_b32_e32 v9, 24, v4
	v_cmp_lt_u16_e64 s0, v11, v10
	s_delay_alu instid0(VALU_DEP_4) | instskip(NEXT) | instid1(VALU_DEP_4)
	v_and_or_b32 v6, 0xffff, v1, v6
	v_and_b32_e32 v8, 0xffff, v8
	s_delay_alu instid0(VALU_DEP_4) | instskip(NEXT) | instid1(VALU_DEP_2)
	v_or_b32_e32 v5, v9, v5
	v_dual_cndmask_b32 v1, v1, v6, s0 :: v_dual_cndmask_b32 v3, v3, v8, s0
	s_delay_alu instid0(VALU_DEP_2) | instskip(SKIP_2) | instid1(VALU_DEP_4)
	v_lshlrev_b32_e32 v5, 16, v5
	v_cmp_lt_u16_e64 s0, v9, v7
	v_min_u16 v8, v9, v7
	v_dual_cndmask_b32 v7, v12, v0 :: v_dual_lshrrev_b32 v6, 8, v1
	s_delay_alu instid0(VALU_DEP_4) | instskip(SKIP_1) | instid1(VALU_DEP_4)
	v_and_or_b32 v5, 0xffff, v4, v5
	v_and_b32_e32 v10, 0xff, v1
	v_lshlrev_b16 v9, 8, v8
	v_cndmask_b32_e32 v0, v0, v12, vcc_lo
	s_delay_alu instid0(VALU_DEP_4) | instskip(SKIP_2) | instid1(VALU_DEP_2)
	v_cndmask_b32_e64 v4, v4, v5, s0
	v_and_b32_e32 v5, 0xff, v6
	v_perm_b32 v6, v1, v1, 0x7060405
	v_cmp_lt_u16_e64 s0, v5, v10
	s_delay_alu instid0(VALU_DEP_1) | instskip(SKIP_1) | instid1(VALU_DEP_2)
	v_dual_cndmask_b32 v1, v1, v6, s0 :: v_dual_lshrrev_b32 v11, 16, v4
	v_bitop3_b16 v5, v4, v9, 0xff bitop3:0xec
	v_lshrrev_b32_e32 v9, 16, v1
	s_delay_alu instid0(VALU_DEP_3) | instskip(NEXT) | instid1(VALU_DEP_3)
	v_bitop3_b16 v6, v7, v11, 0xff00 bitop3:0xf8
	v_and_b32_e32 v5, 0xffff, v5
	v_lshrrev_b32_e32 v10, 24, v1
	v_perm_b32 v11, v1, v1, 0x6070504
	v_and_b32_e32 v9, 0xff, v9
	v_lshlrev_b32_e32 v6, 16, v6
	s_delay_alu instid0(VALU_DEP_2) | instskip(NEXT) | instid1(VALU_DEP_2)
	v_cmp_lt_u16_e32 vcc_lo, v10, v9
	v_or_b32_e32 v5, v5, v6
	v_cndmask_b32_e32 v1, v1, v11, vcc_lo
	v_cmp_lt_u16_e32 vcc_lo, v8, v7
	s_delay_alu instid0(VALU_DEP_3) | instskip(NEXT) | instid1(VALU_DEP_3)
	v_dual_cndmask_b32 v4, v4, v5 :: v_dual_lshrrev_b32 v11, 8, v3
	v_and_b32_e32 v6, 0xff, v1
	v_lshlrev_b16 v12, 8, v1
	s_delay_alu instid0(VALU_DEP_3) | instskip(SKIP_3) | instid1(VALU_DEP_2)
	v_and_b32_e32 v11, 0xff, v11
	v_lshlrev_b16 v5, 8, v0
	v_lshrrev_b32_e32 v9, 24, v4
	v_perm_b32 v10, v4, v1, 0x3020107
	v_cmp_lt_u16_e32 vcc_lo, v6, v9
	v_lshrrev_b32_e32 v13, 16, v4
	v_and_b32_e32 v6, 0xff, v3
	v_perm_b32 v9, 0, v3, 0xc0c0001
	v_cndmask_b32_e32 v1, v1, v10, vcc_lo
	s_delay_alu instid0(VALU_DEP_4) | instskip(NEXT) | instid1(VALU_DEP_4)
	v_bitop3_b16 v10, v13, v12, 0xff bitop3:0xec
	v_cmp_lt_u16_e64 s0, v11, v6
	v_min_u16 v12, v8, v7
	v_max_u16 v7, v8, v7
	v_dual_lshrrev_b32 v13, 16, v1 :: v_dual_lshrrev_b32 v14, 8, v1
	s_delay_alu instid0(VALU_DEP_3) | instskip(SKIP_1) | instid1(VALU_DEP_3)
	v_dual_lshlrev_b32 v10, 16, v10 :: v_dual_bitop2_b32 v5, v12, v5 bitop3:0x54
	v_perm_b32 v15, v1, v1, 0x7050604
	v_and_b32_e32 v13, 0xff, v13
	s_delay_alu instid0(VALU_DEP_4) | instskip(SKIP_3) | instid1(VALU_DEP_4)
	v_and_b32_e32 v14, 0xff, v14
	v_cndmask_b32_e64 v3, v3, v9, s0
	v_and_or_b32 v10, 0xffff, v4, v10
	v_and_b32_e32 v5, 0xffff, v5
	v_cmp_lt_u16_e64 s0, v13, v14
	s_delay_alu instid0(VALU_DEP_1) | instskip(SKIP_3) | instid1(VALU_DEP_4)
	v_dual_cndmask_b32 v1, v1, v15, s0 :: v_dual_cndmask_b32 v4, v4, v10, vcc_lo
	v_lshlrev_b16 v6, 8, v3
	v_cmp_lt_u16_e32 vcc_lo, v12, v0
	v_and_b32_e32 v11, 0xff, v3
	v_lshrrev_b32_e32 v9, 16, v1
	v_and_or_b32 v5, 0xffff0000, v4, v5
	v_max_u16 v0, v12, v0
	s_delay_alu instid0(VALU_DEP_3) | instskip(SKIP_1) | instid1(VALU_DEP_4)
	v_bitop3_b16 v6, v9, v6, 0xff bitop3:0xec
	v_lshrrev_b32_e32 v8, 24, v1
	v_cndmask_b32_e32 v4, v4, v5, vcc_lo
	v_lshlrev_b16 v5, 8, v7
	s_delay_alu instid0(VALU_DEP_4) | instskip(NEXT) | instid1(VALU_DEP_4)
	v_lshlrev_b32_e32 v6, 16, v6
	v_bitop3_b16 v9, v8, v3, 0xff00 bitop3:0xf8
	v_cmp_lt_u16_e32 vcc_lo, v11, v8
	s_delay_alu instid0(VALU_DEP_3) | instskip(NEXT) | instid1(VALU_DEP_3)
	v_and_or_b32 v6, 0xffff, v1, v6
	v_and_b32_e32 v9, 0xffff, v9
	s_delay_alu instid0(VALU_DEP_2) | instskip(NEXT) | instid1(VALU_DEP_2)
	v_dual_cndmask_b32 v1, v1, v6 :: v_dual_lshrrev_b32 v10, 24, v4
	v_cndmask_b32_e32 v3, v3, v9, vcc_lo
	s_delay_alu instid0(VALU_DEP_2) | instskip(SKIP_3) | instid1(VALU_DEP_4)
	v_or_b32_e32 v5, v10, v5
	v_cmp_lt_u16_e32 vcc_lo, v10, v7
	v_min_u16 v8, v10, v7
	v_and_b32_e32 v9, 0xff, v1
	v_lshlrev_b32_e32 v5, 16, v5
	s_delay_alu instid0(VALU_DEP_3) | instskip(NEXT) | instid1(VALU_DEP_2)
	v_lshlrev_b16 v7, 8, v8
	v_and_or_b32 v5, 0xffff, v4, v5
	s_delay_alu instid0(VALU_DEP_1) | instskip(NEXT) | instid1(VALU_DEP_1)
	v_cndmask_b32_e32 v4, v4, v5, vcc_lo
	v_dual_lshrrev_b32 v6, 8, v1 :: v_dual_lshrrev_b32 v10, 16, v4
	s_delay_alu instid0(VALU_DEP_1) | instskip(SKIP_1) | instid1(VALU_DEP_2)
	v_and_b32_e32 v5, 0xff, v6
	v_perm_b32 v6, v1, v1, 0x7060405
	v_cmp_lt_u16_e32 vcc_lo, v5, v9
	s_delay_alu instid0(VALU_DEP_2) | instskip(SKIP_2) | instid1(VALU_DEP_3)
	v_cndmask_b32_e32 v1, v1, v6, vcc_lo
	v_bitop3_b16 v5, v4, v7, 0xff bitop3:0xec
	v_bitop3_b16 v6, v0, v10, 0xff00 bitop3:0xf8
	v_lshrrev_b32_e32 v7, 16, v1
	s_delay_alu instid0(VALU_DEP_3) | instskip(NEXT) | instid1(VALU_DEP_3)
	v_and_b32_e32 v5, 0xffff, v5
	v_dual_lshlrev_b32 v6, 16, v6 :: v_dual_lshrrev_b32 v9, 24, v1
	v_perm_b32 v10, v1, v1, 0x6070504
	s_delay_alu instid0(VALU_DEP_4) | instskip(NEXT) | instid1(VALU_DEP_3)
	v_and_b32_e32 v7, 0xff, v7
	v_or_b32_e32 v5, v5, v6
	s_delay_alu instid0(VALU_DEP_2) | instskip(SKIP_4) | instid1(VALU_DEP_3)
	v_cmp_lt_u16_e32 vcc_lo, v9, v7
	v_perm_b32 v7, 0, v3, 0xc0c0001
	v_cndmask_b32_e32 v1, v1, v10, vcc_lo
	v_cmp_lt_u16_e32 vcc_lo, v8, v0
	v_cndmask_b32_e32 v0, v4, v5, vcc_lo
	v_and_b32_e32 v4, 0xff, v1
	s_delay_alu instid0(VALU_DEP_2) | instskip(SKIP_1) | instid1(VALU_DEP_1)
	v_perm_b32 v6, v0, v1, 0x3020107
	v_lshrrev_b32_e32 v5, 24, v0
	v_cmp_lt_u16_e32 vcc_lo, v4, v5
	s_delay_alu instid0(VALU_DEP_3) | instskip(SKIP_2) | instid1(VALU_DEP_3)
	v_dual_cndmask_b32 v4, v1, v6 :: v_dual_lshrrev_b32 v5, 8, v3
	v_and_b32_e32 v6, 0xff, v3
	v_lshlrev_b16 v1, 8, v1
	v_lshrrev_b32_e32 v8, 16, v4
	s_delay_alu instid0(VALU_DEP_4) | instskip(SKIP_1) | instid1(VALU_DEP_3)
	v_and_b32_e32 v5, 0xff, v5
	v_perm_b32 v11, v4, v4, 0x7050604
	v_and_b32_e32 v8, 0xff, v8
	s_delay_alu instid0(VALU_DEP_3) | instskip(NEXT) | instid1(VALU_DEP_1)
	v_cmp_lt_u16_e64 s0, v5, v6
	v_dual_lshrrev_b32 v9, 8, v4 :: v_dual_cndmask_b32 v3, v3, v7, s0
	s_delay_alu instid0(VALU_DEP_1) | instskip(NEXT) | instid1(VALU_DEP_2)
	v_and_b32_e32 v9, 0xff, v9
	v_lshlrev_b16 v5, 8, v3
	s_delay_alu instid0(VALU_DEP_2) | instskip(NEXT) | instid1(VALU_DEP_1)
	v_cmp_lt_u16_e64 s0, v8, v9
	v_dual_lshrrev_b32 v10, 16, v0 :: v_dual_cndmask_b32 v4, v4, v11, s0
	s_delay_alu instid0(VALU_DEP_1) | instskip(NEXT) | instid1(VALU_DEP_1)
	v_bitop3_b16 v1, v10, v1, 0xff bitop3:0xec
	v_dual_lshrrev_b32 v6, 16, v4 :: v_dual_lshlrev_b32 v1, 16, v1
	s_delay_alu instid0(VALU_DEP_1) | instskip(NEXT) | instid1(VALU_DEP_2)
	v_bitop3_b16 v5, v6, v5, 0xff bitop3:0xec
	v_and_or_b32 v1, 0xffff, v0, v1
	s_delay_alu instid0(VALU_DEP_1) | instskip(NEXT) | instid1(VALU_DEP_1)
	v_dual_cndmask_b32 v0, v0, v1 :: v_dual_lshrrev_b32 v7, 24, v4
	v_bitop3_b16 v6, v7, v3, 0xff00 bitop3:0xf8
	s_delay_alu instid0(VALU_DEP_4) | instskip(SKIP_1) | instid1(VALU_DEP_4)
	v_lshlrev_b32_e32 v1, 16, v5
	v_and_b32_e32 v5, 0xff, v3
	v_lshrrev_b32_e32 v8, 16, v0
	s_delay_alu instid0(VALU_DEP_4) | instskip(NEXT) | instid1(VALU_DEP_4)
	v_and_b32_e32 v6, 0xffff, v6
	v_and_or_b32 v1, 0xffff, v4, v1
	s_delay_alu instid0(VALU_DEP_4) | instskip(NEXT) | instid1(VALU_DEP_4)
	v_cmp_lt_u16_e32 vcc_lo, v5, v7
	v_perm_b32 v0, v0, v8, 0x7000504
	s_delay_alu instid0(VALU_DEP_3) | instskip(NEXT) | instid1(VALU_DEP_1)
	v_dual_cndmask_b32 v3, v3, v6, vcc_lo :: v_dual_cndmask_b32 v1, v4, v1, vcc_lo
	v_perm_b32 v3, v3, v3, 0xc0c0104
	s_clause 0x1
	global_store_b64 v2, v[0:1], s[2:3]
	global_store_b16 v2, v3, s[2:3] offset:8
	s_endpgm
	.section	.rodata,"a",@progbits
	.p2align	6, 0x0
	.amdhsa_kernel _Z9sort_keysILj256ELj10EhN10test_utils4lessEEvPT1_T2_
		.amdhsa_group_segment_fixed_size 0
		.amdhsa_private_segment_fixed_size 0
		.amdhsa_kernarg_size 12
		.amdhsa_user_sgpr_count 2
		.amdhsa_user_sgpr_dispatch_ptr 0
		.amdhsa_user_sgpr_queue_ptr 0
		.amdhsa_user_sgpr_kernarg_segment_ptr 1
		.amdhsa_user_sgpr_dispatch_id 0
		.amdhsa_user_sgpr_kernarg_preload_length 0
		.amdhsa_user_sgpr_kernarg_preload_offset 0
		.amdhsa_user_sgpr_private_segment_size 0
		.amdhsa_wavefront_size32 1
		.amdhsa_uses_dynamic_stack 0
		.amdhsa_enable_private_segment 0
		.amdhsa_system_sgpr_workgroup_id_x 1
		.amdhsa_system_sgpr_workgroup_id_y 0
		.amdhsa_system_sgpr_workgroup_id_z 0
		.amdhsa_system_sgpr_workgroup_info 0
		.amdhsa_system_vgpr_workitem_id 0
		.amdhsa_next_free_vgpr 16
		.amdhsa_next_free_sgpr 5
		.amdhsa_named_barrier_count 0
		.amdhsa_reserve_vcc 1
		.amdhsa_float_round_mode_32 0
		.amdhsa_float_round_mode_16_64 0
		.amdhsa_float_denorm_mode_32 3
		.amdhsa_float_denorm_mode_16_64 3
		.amdhsa_fp16_overflow 0
		.amdhsa_memory_ordered 1
		.amdhsa_forward_progress 1
		.amdhsa_inst_pref_size 26
		.amdhsa_round_robin_scheduling 0
		.amdhsa_exception_fp_ieee_invalid_op 0
		.amdhsa_exception_fp_denorm_src 0
		.amdhsa_exception_fp_ieee_div_zero 0
		.amdhsa_exception_fp_ieee_overflow 0
		.amdhsa_exception_fp_ieee_underflow 0
		.amdhsa_exception_fp_ieee_inexact 0
		.amdhsa_exception_int_div_zero 0
	.end_amdhsa_kernel
	.section	.text._Z9sort_keysILj256ELj10EhN10test_utils4lessEEvPT1_T2_,"axG",@progbits,_Z9sort_keysILj256ELj10EhN10test_utils4lessEEvPT1_T2_,comdat
.Lfunc_end4:
	.size	_Z9sort_keysILj256ELj10EhN10test_utils4lessEEvPT1_T2_, .Lfunc_end4-_Z9sort_keysILj256ELj10EhN10test_utils4lessEEvPT1_T2_
                                        ; -- End function
	.set _Z9sort_keysILj256ELj10EhN10test_utils4lessEEvPT1_T2_.num_vgpr, 16
	.set _Z9sort_keysILj256ELj10EhN10test_utils4lessEEvPT1_T2_.num_agpr, 0
	.set _Z9sort_keysILj256ELj10EhN10test_utils4lessEEvPT1_T2_.numbered_sgpr, 5
	.set _Z9sort_keysILj256ELj10EhN10test_utils4lessEEvPT1_T2_.num_named_barrier, 0
	.set _Z9sort_keysILj256ELj10EhN10test_utils4lessEEvPT1_T2_.private_seg_size, 0
	.set _Z9sort_keysILj256ELj10EhN10test_utils4lessEEvPT1_T2_.uses_vcc, 1
	.set _Z9sort_keysILj256ELj10EhN10test_utils4lessEEvPT1_T2_.uses_flat_scratch, 0
	.set _Z9sort_keysILj256ELj10EhN10test_utils4lessEEvPT1_T2_.has_dyn_sized_stack, 0
	.set _Z9sort_keysILj256ELj10EhN10test_utils4lessEEvPT1_T2_.has_recursion, 0
	.set _Z9sort_keysILj256ELj10EhN10test_utils4lessEEvPT1_T2_.has_indirect_call, 0
	.section	.AMDGPU.csdata,"",@progbits
; Kernel info:
; codeLenInByte = 3328
; TotalNumSgprs: 7
; NumVgprs: 16
; ScratchSize: 0
; MemoryBound: 0
; FloatMode: 240
; IeeeMode: 1
; LDSByteSize: 0 bytes/workgroup (compile time only)
; SGPRBlocks: 0
; VGPRBlocks: 0
; NumSGPRsForWavesPerEU: 7
; NumVGPRsForWavesPerEU: 16
; NamedBarCnt: 0
; Occupancy: 16
; WaveLimiterHint : 0
; COMPUTE_PGM_RSRC2:SCRATCH_EN: 0
; COMPUTE_PGM_RSRC2:USER_SGPR: 2
; COMPUTE_PGM_RSRC2:TRAP_HANDLER: 0
; COMPUTE_PGM_RSRC2:TGID_X_EN: 1
; COMPUTE_PGM_RSRC2:TGID_Y_EN: 0
; COMPUTE_PGM_RSRC2:TGID_Z_EN: 0
; COMPUTE_PGM_RSRC2:TIDIG_COMP_CNT: 0
	.section	.text._Z9sort_keysILj256ELj9EyN10test_utils4lessEEvPT1_T2_,"axG",@progbits,_Z9sort_keysILj256ELj9EyN10test_utils4lessEEvPT1_T2_,comdat
	.protected	_Z9sort_keysILj256ELj9EyN10test_utils4lessEEvPT1_T2_ ; -- Begin function _Z9sort_keysILj256ELj9EyN10test_utils4lessEEvPT1_T2_
	.globl	_Z9sort_keysILj256ELj9EyN10test_utils4lessEEvPT1_T2_
	.p2align	8
	.type	_Z9sort_keysILj256ELj9EyN10test_utils4lessEEvPT1_T2_,@function
_Z9sort_keysILj256ELj9EyN10test_utils4lessEEvPT1_T2_: ; @_Z9sort_keysILj256ELj9EyN10test_utils4lessEEvPT1_T2_
; %bb.0:
	s_load_b64 s[0:1], s[0:1], 0x0
	s_bfe_u32 s2, ttmp6, 0x4000c
	s_and_b32 s3, ttmp6, 15
	s_add_co_i32 s2, s2, 1
	s_getreg_b32 s4, hwreg(HW_REG_IB_STS2, 6, 4)
	s_mul_i32 s2, ttmp9, s2
	v_mul_u32_u24_e32 v54, 9, v0
	s_add_co_i32 s3, s3, s2
	s_cmp_eq_u32 s4, 0
	s_cselect_b32 s2, ttmp9, s3
	s_mov_b32 s3, 0
	s_mulk_i32 s2, 0x900
	v_lshlrev_b32_e32 v55, 3, v54
	s_lshl_b64 s[2:3], s[2:3], 3
	s_wait_kmcnt 0x0
	s_add_nc_u64 s[8:9], s[0:1], s[2:3]
	s_clause 0x4
	global_load_b128 v[0:3], v55, s[8:9]
	global_load_b128 v[4:7], v55, s[8:9] offset:16
	global_load_b128 v[8:11], v55, s[8:9] offset:32
	;; [unrolled: 1-line block ×3, first 2 shown]
	global_load_b64 v[16:17], v54, s[8:9] offset:64 scale_offset
	s_wait_loadcnt 0x4
	v_max_u64 v[18:19], v[2:3], v[0:1]
	s_wait_loadcnt 0x3
	v_min_u64 v[20:21], v[6:7], v[4:5]
	v_cmp_lt_u64_e32 vcc_lo, v[6:7], v[4:5]
	s_wait_loadcnt 0x2
	v_cmp_lt_u64_e64 s0, v[10:11], v[8:9]
	v_min_u64 v[30:31], v[2:3], v[0:1]
	v_cmp_lt_u64_e64 s2, v[2:3], v[0:1]
	s_wait_loadcnt 0x1
	v_cmp_lt_u64_e64 s3, v[14:15], v[12:13]
	v_cndmask_b32_e32 v25, v7, v5, vcc_lo
	v_dual_cndmask_b32 v27, v11, v9, s0 :: v_dual_cndmask_b32 v24, v6, v4, vcc_lo
	v_dual_cndmask_b32 v29, v9, v11, s0 :: v_dual_cndmask_b32 v28, v8, v10, s0
	s_delay_alu instid0(VALU_DEP_4) | instskip(SKIP_1) | instid1(VALU_DEP_3)
	v_dual_cndmask_b32 v26, v10, v8, s0 :: v_dual_cndmask_b32 v39, v13, v15, s3
	v_dual_cndmask_b32 v38, v12, v14, s3 :: v_dual_cndmask_b32 v10, v14, v12, s3
	v_cmp_lt_u64_e64 s1, v[28:29], v[24:25]
	v_dual_cndmask_b32 v56, v1, v3, s2 :: v_dual_cndmask_b32 v11, v15, v13, s3
	s_delay_alu instid0(VALU_DEP_3) | instskip(SKIP_1) | instid1(VALU_DEP_4)
	v_cmp_lt_u64_e64 s4, v[38:39], v[26:27]
	v_dual_cndmask_b32 v1, v3, v1, s2 :: v_dual_cndmask_b32 v5, v5, v7, vcc_lo
	v_dual_cndmask_b32 v9, v29, v25, s1 :: v_dual_cndmask_b32 v34, v24, v28, s1
	v_dual_cndmask_b32 v35, v25, v29, s1 :: v_dual_cndmask_b32 v25, v0, v2, s2
	s_delay_alu instid0(VALU_DEP_4)
	v_dual_cndmask_b32 v8, v28, v24, s1 :: v_dual_cndmask_b32 v15, v39, v27, s4
	v_cndmask_b32_e64 v24, v26, v38, s4
	s_wait_loadcnt 0x0
	v_cmp_lt_u64_e64 s1, v[16:17], v[10:11]
	v_max_u64 v[22:23], v[20:21], v[18:19]
	v_min_u64 v[32:33], v[20:21], v[18:19]
	v_cndmask_b32_e64 v14, v38, v26, s4
	v_cmp_lt_u64_e64 s0, v[20:21], v[30:31]
	v_cmp_lt_u64_e64 s6, v[20:21], v[18:19]
	s_delay_alu instid0(VALU_DEP_1) | instskip(SKIP_1) | instid1(VALU_DEP_4)
	v_dual_cndmask_b32 v0, v2, v0, s2 :: v_dual_cndmask_b32 v19, v5, v19, s6
	v_min_u64 v[36:37], v[34:35], v[22:23]
	v_dual_cndmask_b32 v57, v25, v32, s0 :: v_dual_cndmask_b32 v12, v32, v30, s0
	v_cndmask_b32_e64 v13, v33, v31, s0
	v_cndmask_b32_e64 v25, v27, v39, s4
	v_cmp_lt_u64_e64 s4, v[34:35], v[22:23]
	v_dual_cndmask_b32 v27, v17, v11, s1 :: v_dual_cndmask_b32 v39, v11, v17, s1
	s_delay_alu instid0(VALU_DEP_3) | instskip(NEXT) | instid1(VALU_DEP_3)
	v_cmp_lt_u64_e64 s3, v[24:25], v[8:9]
	v_dual_cndmask_b32 v38, v10, v16, s1 :: v_dual_cndmask_b32 v23, v35, v23, s4
	s_delay_alu instid0(VALU_DEP_2) | instskip(SKIP_1) | instid1(VALU_DEP_3)
	v_dual_cndmask_b32 v22, v34, v22, s4 :: v_dual_cndmask_b32 v43, v9, v25, s3
	v_dual_cndmask_b32 v42, v8, v24, s3 :: v_dual_cndmask_b32 v11, v25, v9, s3
	v_cmp_lt_u64_e64 s5, v[38:39], v[14:15]
	v_cndmask_b32_e64 v26, v16, v10, s1
	v_cndmask_b32_e64 v10, v24, v8, s3
	s_delay_alu instid0(VALU_DEP_4) | instskip(SKIP_3) | instid1(VALU_DEP_4)
	v_cmp_lt_u64_e64 s1, v[42:43], v[22:23]
	v_dual_cndmask_b32 v25, v31, v33, s0 :: v_dual_cndmask_b32 v24, v30, v32, s0
	v_dual_cndmask_b32 v32, v56, v33, s0 :: v_dual_cndmask_b32 v9, v39, v15, s5
	;; [unrolled: 1-line block ×3, first 2 shown]
	v_cndmask_b32_e64 v45, v23, v43, s1
	v_dual_cndmask_b32 v15, v43, v23, s1 :: v_dual_cndmask_b32 v44, v22, v42, s1
	v_min_u64 v[28:29], v[36:37], v[12:13]
	v_max_u64 v[40:41], v[36:37], v[12:13]
	v_cmp_lt_u64_e64 s3, v[16:17], v[10:11]
	s_delay_alu instid0(VALU_DEP_1) | instskip(NEXT) | instid1(VALU_DEP_1)
	v_dual_cndmask_b32 v8, v38, v14, s5 :: v_dual_cndmask_b32 v49, v17, v11, s3
	v_cmp_lt_u64_e64 s5, v[26:27], v[8:9]
	v_cndmask_b32_e64 v48, v16, v10, s3
	v_dual_cndmask_b32 v4, v4, v6, vcc_lo :: v_dual_cndmask_b32 v6, v1, v21, s6
	s_delay_alu instid0(VALU_DEP_3) | instskip(SKIP_2) | instid1(VALU_DEP_4)
	v_dual_cndmask_b32 v1, v11, v17, s3 :: v_dual_cndmask_b32 v50, v26, v8, s5
	v_dual_cndmask_b32 v53, v9, v27, s5 :: v_dual_cndmask_b32 v52, v8, v26, s5
	;; [unrolled: 1-line block ×4, first 2 shown]
	s_delay_alu instid0(VALU_DEP_3)
	v_cmp_lt_u64_e32 vcc_lo, v[52:53], v[48:49]
	v_cndmask_b32_e64 v0, v10, v16, s3
	v_cndmask_b32_e64 v14, v42, v22, s1
	v_dual_cndmask_b32 v20, v9, v30, s0 :: v_dual_cndmask_b32 v22, v19, v35, s4
	v_dual_cndmask_b32 v3, v53, v49 :: v_dual_cndmask_b32 v2, v52, v48
	v_max_u64 v[38:39], v[28:29], v[24:25]
	v_min_u64 v[46:47], v[44:45], v[40:41]
	v_dual_cndmask_b32 v5, v49, v53 :: v_dual_cndmask_b32 v4, v48, v52
	s_delay_alu instid0(VALU_DEP_4) | instskip(SKIP_3) | instid1(VALU_DEP_3)
	v_cmp_lt_u64_e32 vcc_lo, v[50:51], v[2:3]
	v_cmp_lt_u64_e64 s1, v[0:1], v[14:15]
	v_dual_cndmask_b32 v17, v51, v3 :: v_dual_cndmask_b32 v16, v50, v2
	v_cndmask_b32_e32 v3, v3, v51, vcc_lo
	v_dual_cndmask_b32 v9, v1, v15, s1 :: v_dual_cndmask_b32 v8, v0, v14, s1
	v_dual_cndmask_b32 v2, v2, v50, vcc_lo :: v_dual_cndmask_b32 v1, v15, v1, s1
	v_cmp_lt_u64_e32 vcc_lo, v[44:45], v[40:41]
	v_cndmask_b32_e64 v21, v18, v34, s4
	s_delay_alu instid0(VALU_DEP_4)
	v_cmp_lt_u64_e64 s0, v[4:5], v[8:9]
	v_cndmask_b32_e64 v0, v14, v0, s1
	v_cmp_lt_u64_e64 s1, v[36:37], v[12:13]
	v_min_u64 v[18:19], v[28:29], v[24:25]
	v_dual_cndmask_b32 v11, v45, v41 :: v_dual_cndmask_b32 v10, v44, v40
	v_dual_cndmask_b32 v15, v5, v9, s0 :: v_dual_cndmask_b32 v14, v4, v8, s0
	s_delay_alu instid0(VALU_DEP_4) | instskip(SKIP_1) | instid1(VALU_DEP_4)
	v_cndmask_b32_e64 v35, v22, v13, s1
	v_cndmask_b32_e64 v5, v9, v5, s0
	v_cmp_lt_u64_e64 s2, v[0:1], v[10:11]
	v_cndmask_b32_e64 v34, v21, v12, s1
	v_max_u64 v[6:7], v[46:47], v[38:39]
	v_cmp_lt_u64_e64 s3, v[2:3], v[14:15]
	v_cndmask_b32_e64 v36, v20, v36, s1
	v_min_u64 v[20:21], v[46:47], v[38:39]
	v_dual_cndmask_b32 v4, v8, v4, s0 :: v_dual_cndmask_b32 v23, v11, v1, s2
	v_dual_cndmask_b32 v22, v10, v0, s2 :: v_dual_cndmask_b32 v13, v1, v11, s2
	v_dual_cndmask_b32 v27, v3, v15, s3 :: v_dual_cndmask_b32 v11, v26, v37, s1
	v_dual_cndmask_b32 v26, v2, v14, s3 :: v_dual_cndmask_b32 v1, v15, v3, s3
	v_cndmask_b32_e64 v12, v0, v10, s2
	v_cmp_lt_u64_e64 s1, v[28:29], v[24:25]
	v_cndmask_b32_e32 v15, v34, v44, vcc_lo
	s_delay_alu instid0(VALU_DEP_4)
	v_cmp_lt_u64_e64 s0, v[16:17], v[26:27]
	v_cndmask_b32_e64 v0, v14, v2, s3
	v_cmp_lt_u64_e64 s2, v[4:5], v[12:13]
	v_cndmask_b32_e32 v14, v35, v45, vcc_lo
	v_dual_cndmask_b32 v32, v32, v29, s1 :: v_dual_cndmask_b32 v10, v57, v28, s1
	v_cndmask_b32_e64 v9, v27, v17, s0
	v_cmp_lt_u64_e32 vcc_lo, v[46:47], v[18:19]
	v_dual_cndmask_b32 v3, v5, v13, s2 :: v_dual_cndmask_b32 v2, v4, v12, s2
	v_dual_cndmask_b32 v33, v17, v27, s0 :: v_dual_cndmask_b32 v17, v11, v25, s1
	;; [unrolled: 1-line block ×3, first 2 shown]
	v_cndmask_b32_e64 v4, v12, v4, s2
	s_delay_alu instid0(VALU_DEP_4)
	v_cmp_lt_u64_e64 s1, v[0:1], v[2:3]
	v_min_u64 v[30:31], v[22:23], v[6:7]
	v_cmp_lt_u64_e64 s2, v[46:47], v[38:39]
	v_cmp_lt_u64_e64 s3, v[22:23], v[6:7]
	v_dual_cndmask_b32 v13, v21, v19 :: v_dual_cndmask_b32 v12, v20, v18
	v_dual_cndmask_b32 v34, v10, v20, vcc_lo :: v_dual_cndmask_b32 v11, v1, v3, s1
	s_delay_alu instid0(VALU_DEP_4) | instskip(SKIP_4) | instid1(VALU_DEP_3)
	v_dual_cndmask_b32 v10, v0, v2, s1 :: v_dual_cndmask_b32 v36, v14, v39, s2
	v_dual_cndmask_b32 v35, v15, v38, s2 :: v_dual_cndmask_b32 v17, v17, v47, s2
	;; [unrolled: 1-line block ×3, first 2 shown]
	v_cndmask_b32_e64 v6, v22, v6, s3
	v_dual_cndmask_b32 v27, v27, v46, s2 :: v_dual_cndmask_b32 v28, v2, v0, s1
	v_cmp_lt_u64_e64 s4, v[8:9], v[10:11]
	v_cndmask_b32_e64 v29, v3, v1, s1
	s_delay_alu instid0(VALU_DEP_4) | instskip(SKIP_1) | instid1(VALU_DEP_4)
	v_cmp_lt_u64_e64 s1, v[4:5], v[6:7]
	v_dual_cndmask_b32 v32, v32, v21 :: v_dual_cndmask_b32 v17, v17, v19
	v_dual_cndmask_b32 v27, v27, v18, vcc_lo :: v_dual_cndmask_b32 v3, v9, v11, s4
	v_dual_cndmask_b32 v2, v8, v10, s4 :: v_dual_cndmask_b32 v1, v11, v9, s4
	s_delay_alu instid0(VALU_DEP_4)
	v_dual_cndmask_b32 v0, v10, v8, s4 :: v_dual_cndmask_b32 v9, v5, v7, s1
	v_dual_cndmask_b32 v8, v4, v6, s1 :: v_dual_cndmask_b32 v11, v19, v21, vcc_lo
	v_dual_cndmask_b32 v10, v18, v20, vcc_lo :: v_dual_cndmask_b32 v19, v7, v5, s1
	v_cndmask_b32_e64 v18, v6, v4, s1
	v_min_u64 v[24:25], v[30:31], v[12:13]
	v_max_u64 v[14:15], v[30:31], v[12:13]
	v_cmp_lt_u64_e32 vcc_lo, v[28:29], v[8:9]
	v_cmp_lt_u64_e64 s2, v[30:31], v[12:13]
	v_dual_cndmask_b32 v20, v36, v23, s3 :: v_dual_cndmask_b32 v21, v35, v22, s3
	v_dual_cndmask_b32 v7, v29, v9 :: v_dual_cndmask_b32 v6, v28, v8
	v_cndmask_b32_e32 v5, v9, v29, vcc_lo
	s_delay_alu instid0(VALU_DEP_3) | instskip(SKIP_4) | instid1(VALU_DEP_2)
	v_cndmask_b32_e64 v9, v21, v12, s2
	v_dual_cndmask_b32 v12, v17, v31, s2 :: v_dual_cndmask_b32 v4, v8, v28, vcc_lo
	v_dual_cndmask_b32 v8, v20, v13, s2 :: v_dual_cndmask_b32 v17, v27, v30, s2
	v_cmp_lt_u64_e64 s1, v[24:25], v[10:11]
	v_cmp_lt_u64_e64 s3, v[18:19], v[14:15]
	v_dual_cndmask_b32 v11, v12, v11, s1 :: v_dual_cndmask_b32 v10, v17, v10, s1
	s_delay_alu instid0(VALU_DEP_2)
	v_dual_cndmask_b32 v15, v19, v15, s3 :: v_dual_cndmask_b32 v14, v18, v14, s3
	v_dual_cndmask_b32 v13, v8, v19, s3 :: v_dual_cndmask_b32 v12, v9, v18, s3
	;; [unrolled: 1-line block ×3, first 2 shown]
	v_cndmask_b32_e64 v32, v16, v26, s0
	s_clause 0x4
	global_store_b128 v55, v[0:3], s[8:9] offset:48
	global_store_b128 v55, v[12:15], s[8:9] offset:16
	;; [unrolled: 1-line block ×3, first 2 shown]
	global_store_b128 v55, v[8:11], s[8:9]
	global_store_b64 v54, v[32:33], s[8:9] offset:64 scale_offset
	s_endpgm
	.section	.rodata,"a",@progbits
	.p2align	6, 0x0
	.amdhsa_kernel _Z9sort_keysILj256ELj9EyN10test_utils4lessEEvPT1_T2_
		.amdhsa_group_segment_fixed_size 0
		.amdhsa_private_segment_fixed_size 0
		.amdhsa_kernarg_size 12
		.amdhsa_user_sgpr_count 2
		.amdhsa_user_sgpr_dispatch_ptr 0
		.amdhsa_user_sgpr_queue_ptr 0
		.amdhsa_user_sgpr_kernarg_segment_ptr 1
		.amdhsa_user_sgpr_dispatch_id 0
		.amdhsa_user_sgpr_kernarg_preload_length 0
		.amdhsa_user_sgpr_kernarg_preload_offset 0
		.amdhsa_user_sgpr_private_segment_size 0
		.amdhsa_wavefront_size32 1
		.amdhsa_uses_dynamic_stack 0
		.amdhsa_enable_private_segment 0
		.amdhsa_system_sgpr_workgroup_id_x 1
		.amdhsa_system_sgpr_workgroup_id_y 0
		.amdhsa_system_sgpr_workgroup_id_z 0
		.amdhsa_system_sgpr_workgroup_info 0
		.amdhsa_system_vgpr_workitem_id 0
		.amdhsa_next_free_vgpr 58
		.amdhsa_next_free_sgpr 10
		.amdhsa_named_barrier_count 0
		.amdhsa_reserve_vcc 1
		.amdhsa_float_round_mode_32 0
		.amdhsa_float_round_mode_16_64 0
		.amdhsa_float_denorm_mode_32 3
		.amdhsa_float_denorm_mode_16_64 3
		.amdhsa_fp16_overflow 0
		.amdhsa_memory_ordered 1
		.amdhsa_forward_progress 1
		.amdhsa_inst_pref_size 13
		.amdhsa_round_robin_scheduling 0
		.amdhsa_exception_fp_ieee_invalid_op 0
		.amdhsa_exception_fp_denorm_src 0
		.amdhsa_exception_fp_ieee_div_zero 0
		.amdhsa_exception_fp_ieee_overflow 0
		.amdhsa_exception_fp_ieee_underflow 0
		.amdhsa_exception_fp_ieee_inexact 0
		.amdhsa_exception_int_div_zero 0
	.end_amdhsa_kernel
	.section	.text._Z9sort_keysILj256ELj9EyN10test_utils4lessEEvPT1_T2_,"axG",@progbits,_Z9sort_keysILj256ELj9EyN10test_utils4lessEEvPT1_T2_,comdat
.Lfunc_end5:
	.size	_Z9sort_keysILj256ELj9EyN10test_utils4lessEEvPT1_T2_, .Lfunc_end5-_Z9sort_keysILj256ELj9EyN10test_utils4lessEEvPT1_T2_
                                        ; -- End function
	.set _Z9sort_keysILj256ELj9EyN10test_utils4lessEEvPT1_T2_.num_vgpr, 58
	.set _Z9sort_keysILj256ELj9EyN10test_utils4lessEEvPT1_T2_.num_agpr, 0
	.set _Z9sort_keysILj256ELj9EyN10test_utils4lessEEvPT1_T2_.numbered_sgpr, 10
	.set _Z9sort_keysILj256ELj9EyN10test_utils4lessEEvPT1_T2_.num_named_barrier, 0
	.set _Z9sort_keysILj256ELj9EyN10test_utils4lessEEvPT1_T2_.private_seg_size, 0
	.set _Z9sort_keysILj256ELj9EyN10test_utils4lessEEvPT1_T2_.uses_vcc, 1
	.set _Z9sort_keysILj256ELj9EyN10test_utils4lessEEvPT1_T2_.uses_flat_scratch, 0
	.set _Z9sort_keysILj256ELj9EyN10test_utils4lessEEvPT1_T2_.has_dyn_sized_stack, 0
	.set _Z9sort_keysILj256ELj9EyN10test_utils4lessEEvPT1_T2_.has_recursion, 0
	.set _Z9sort_keysILj256ELj9EyN10test_utils4lessEEvPT1_T2_.has_indirect_call, 0
	.section	.AMDGPU.csdata,"",@progbits
; Kernel info:
; codeLenInByte = 1620
; TotalNumSgprs: 12
; NumVgprs: 58
; ScratchSize: 0
; MemoryBound: 0
; FloatMode: 240
; IeeeMode: 1
; LDSByteSize: 0 bytes/workgroup (compile time only)
; SGPRBlocks: 0
; VGPRBlocks: 3
; NumSGPRsForWavesPerEU: 12
; NumVGPRsForWavesPerEU: 58
; NamedBarCnt: 0
; Occupancy: 16
; WaveLimiterHint : 0
; COMPUTE_PGM_RSRC2:SCRATCH_EN: 0
; COMPUTE_PGM_RSRC2:USER_SGPR: 2
; COMPUTE_PGM_RSRC2:TRAP_HANDLER: 0
; COMPUTE_PGM_RSRC2:TGID_X_EN: 1
; COMPUTE_PGM_RSRC2:TGID_Y_EN: 0
; COMPUTE_PGM_RSRC2:TGID_Z_EN: 0
; COMPUTE_PGM_RSRC2:TIDIG_COMP_CNT: 0
	.section	.text._Z9sort_keysILj256ELj8EtN10test_utils4lessEEvPT1_T2_,"axG",@progbits,_Z9sort_keysILj256ELj8EtN10test_utils4lessEEvPT1_T2_,comdat
	.protected	_Z9sort_keysILj256ELj8EtN10test_utils4lessEEvPT1_T2_ ; -- Begin function _Z9sort_keysILj256ELj8EtN10test_utils4lessEEvPT1_T2_
	.globl	_Z9sort_keysILj256ELj8EtN10test_utils4lessEEvPT1_T2_
	.p2align	8
	.type	_Z9sort_keysILj256ELj8EtN10test_utils4lessEEvPT1_T2_,@function
_Z9sort_keysILj256ELj8EtN10test_utils4lessEEvPT1_T2_: ; @_Z9sort_keysILj256ELj8EtN10test_utils4lessEEvPT1_T2_
; %bb.0:
	s_load_b64 s[0:1], s[0:1], 0x0
	s_bfe_u32 s2, ttmp6, 0x4000c
	s_and_b32 s3, ttmp6, 15
	s_add_co_i32 s2, s2, 1
	s_getreg_b32 s4, hwreg(HW_REG_IB_STS2, 6, 4)
	s_mul_i32 s2, ttmp9, s2
	s_delay_alu instid0(SALU_CYCLE_1) | instskip(SKIP_4) | instid1(SALU_CYCLE_1)
	s_add_co_i32 s3, s3, s2
	s_cmp_eq_u32 s4, 0
	s_cselect_b32 s2, ttmp9, s3
	s_mov_b32 s3, 0
	s_lshl_b32 s2, s2, 11
	s_lshl_b64 s[2:3], s[2:3], 1
	s_wait_kmcnt 0x0
	s_add_nc_u64 s[2:3], s[0:1], s[2:3]
	global_load_b128 v[2:5], v0, s[2:3] scale_offset
	s_wait_loadcnt 0x0
	v_dual_lshrrev_b32 v1, 16, v2 :: v_dual_lshrrev_b32 v7, 16, v3
	v_alignbit_b32 v6, v2, v2, 16
	v_alignbit_b32 v8, v3, v3, 16
	v_dual_lshrrev_b32 v11, 16, v4 :: v_dual_lshrrev_b32 v13, 16, v5
	s_delay_alu instid0(VALU_DEP_4)
	v_cmp_lt_u16_e32 vcc_lo, v1, v2
	v_max_u16 v9, v1, v2
	v_min_u16 v10, v7, v3
	v_alignbit_b32 v12, v4, v4, 16
	v_min_u16 v1, v1, v2
	v_cndmask_b32_e32 v6, v2, v6, vcc_lo
	v_cmp_lt_u16_e32 vcc_lo, v7, v3
	v_min_u16 v2, v10, v9
	s_delay_alu instid0(VALU_DEP_4) | instskip(SKIP_3) | instid1(VALU_DEP_3)
	v_cmp_lt_u16_e64 s0, v10, v1
	v_cndmask_b32_e32 v3, v3, v8, vcc_lo
	v_perm_b32 v7, v10, v6, 0x5040100
	v_cmp_lt_u16_e32 vcc_lo, v10, v9
	v_bfi_b32 v8, 0xffff, v9, v3
	v_max_u16 v9, v10, v9
	s_delay_alu instid0(VALU_DEP_4) | instskip(SKIP_1) | instid1(VALU_DEP_4)
	v_cndmask_b32_e32 v6, v6, v7, vcc_lo
	v_alignbit_b32 v7, v5, v5, 16
	v_dual_cndmask_b32 v10, v2, v1, s0 :: v_dual_cndmask_b32 v3, v3, v8, vcc_lo
	v_cmp_lt_u16_e32 vcc_lo, v11, v4
	s_delay_alu instid0(VALU_DEP_2) | instskip(SKIP_1) | instid1(VALU_DEP_2)
	v_dual_lshrrev_b32 v8, 16, v3 :: v_dual_cndmask_b32 v4, v4, v12, vcc_lo
	v_cmp_lt_u16_e32 vcc_lo, v13, v5
	v_perm_b32 v11, v4, v3, 0x5040100
	v_cndmask_b32_e32 v5, v5, v7, vcc_lo
	s_delay_alu instid0(VALU_DEP_4) | instskip(SKIP_3) | instid1(VALU_DEP_2)
	v_cmp_lt_u16_e32 vcc_lo, v4, v8
	v_perm_b32 v7, v4, v3, 0x7060302
	v_perm_b32 v8, v1, v2, 0x5040100
	v_dual_cndmask_b32 v1, v1, v2, s0 :: v_dual_cndmask_b32 v3, v3, v11, vcc_lo
	v_dual_cndmask_b32 v4, v4, v7, vcc_lo :: v_dual_cndmask_b32 v6, v6, v8, s0
	s_delay_alu instid0(VALU_DEP_2) | instskip(SKIP_1) | instid1(VALU_DEP_3)
	v_lshrrev_b32_e32 v7, 16, v3
	v_alignbit_b32 v8, v9, v3, 16
	v_lshrrev_b32_e32 v11, 16, v4
	v_perm_b32 v12, v5, v4, 0x5040100
	v_perm_b32 v2, v5, v4, 0x7060302
	v_cmp_lt_u16_e32 vcc_lo, v7, v9
	v_min_u16 v7, v7, v9
	v_cndmask_b32_e32 v3, v3, v8, vcc_lo
	v_cmp_lt_u16_e32 vcc_lo, v5, v11
	s_delay_alu instid0(VALU_DEP_3) | instskip(SKIP_2) | instid1(VALU_DEP_1)
	v_cmp_lt_u16_e64 s0, v7, v10
	v_perm_b32 v9, v7, v6, 0x5040100
	v_dual_cndmask_b32 v8, v4, v12, vcc_lo :: v_dual_cndmask_b32 v2, v5, v2, vcc_lo
	v_dual_cndmask_b32 v5, v6, v9, s0 :: v_dual_lshrrev_b32 v11, 16, v8
	v_bfi_b32 v4, 0xffff, v10, v3
	s_delay_alu instid0(VALU_DEP_1) | instskip(SKIP_2) | instid1(VALU_DEP_3)
	v_cndmask_b32_e64 v3, v3, v4, s0
	v_max_u16 v4, v7, v10
	v_min_u16 v7, v7, v10
	v_lshrrev_b32_e32 v10, 16, v3
	v_alignbit_b32 v12, v8, v8, 16
	v_cmp_lt_u16_e64 s1, v11, v8
	s_delay_alu instid0(VALU_DEP_4) | instskip(SKIP_2) | instid1(VALU_DEP_4)
	v_perm_b32 v6, v1, v7, 0x5040100
	v_cmp_lt_u16_e64 s0, v7, v1
	v_min_u16 v13, v7, v1
	v_cndmask_b32_e64 v8, v8, v12, s1
	v_alignbit_b32 v12, v2, v2, 16
	s_delay_alu instid0(VALU_DEP_2) | instskip(SKIP_2) | instid1(VALU_DEP_3)
	v_perm_b32 v9, v8, v3, 0x5040100
	v_cmp_lt_u16_e32 vcc_lo, v8, v10
	v_perm_b32 v10, v8, v3, 0x7060302
	v_dual_lshrrev_b32 v11, 16, v2 :: v_dual_cndmask_b32 v3, v3, v9, vcc_lo
	s_delay_alu instid0(VALU_DEP_2) | instskip(NEXT) | instid1(VALU_DEP_2)
	v_cndmask_b32_e32 v8, v8, v10, vcc_lo
	v_cmp_lt_u16_e32 vcc_lo, v11, v2
	v_max_u16 v9, v7, v1
	s_delay_alu instid0(VALU_DEP_4) | instskip(SKIP_3) | instid1(VALU_DEP_4)
	v_lshrrev_b32_e32 v10, 16, v3
	v_alignbit_b32 v11, v4, v3, 16
	v_cndmask_b32_e32 v2, v2, v12, vcc_lo
	v_lshrrev_b32_e32 v12, 16, v8
	v_cmp_lt_u16_e32 vcc_lo, v10, v4
	v_min_u16 v4, v10, v4
	s_delay_alu instid0(VALU_DEP_4) | instskip(SKIP_3) | instid1(VALU_DEP_3)
	v_perm_b32 v14, v2, v8, 0x5040100
	v_perm_b32 v15, v2, v8, 0x7060302
	v_cndmask_b32_e32 v3, v3, v11, vcc_lo
	v_cmp_lt_u16_e32 vcc_lo, v2, v12
	v_dual_cndmask_b32 v1, v5, v6, s0 :: v_dual_cndmask_b32 v2, v2, v15, vcc_lo
	v_cndmask_b32_e32 v8, v8, v14, vcc_lo
	s_delay_alu instid0(VALU_DEP_4) | instskip(SKIP_1) | instid1(VALU_DEP_3)
	v_bfi_b32 v5, 0xffff, v9, v3
	v_cmp_lt_u16_e32 vcc_lo, v4, v9
	v_dual_lshrrev_b32 v10, 16, v2 :: v_dual_lshrrev_b32 v6, 16, v8
	v_alignbit_b32 v7, v8, v8, 16
	s_delay_alu instid0(VALU_DEP_4) | instskip(SKIP_1) | instid1(VALU_DEP_4)
	v_cndmask_b32_e32 v3, v3, v5, vcc_lo
	v_perm_b32 v5, v4, v1, 0x5040100
	v_cmp_lt_u16_e64 s0, v6, v8
	s_delay_alu instid0(VALU_DEP_2) | instskip(SKIP_1) | instid1(VALU_DEP_3)
	v_cndmask_b32_e32 v1, v1, v5, vcc_lo
	v_cmp_lt_u16_e32 vcc_lo, v10, v2
	v_cndmask_b32_e64 v6, v8, v7, s0
	v_lshrrev_b32_e32 v8, 16, v3
	v_max_u16 v7, v4, v9
	v_min_u16 v9, v4, v9
	s_delay_alu instid0(VALU_DEP_4) | instskip(SKIP_4) | instid1(VALU_DEP_3)
	v_perm_b32 v11, v6, v3, 0x5040100
	v_perm_b32 v12, v6, v3, 0x7060302
	v_cmp_lt_u16_e64 s0, v6, v8
	v_alignbit_b32 v8, v2, v2, 16
	v_perm_b32 v5, v13, v9, 0x5040100
	v_dual_cndmask_b32 v6, v6, v12, s0 :: v_dual_cndmask_b32 v3, v3, v11, s0
	s_delay_alu instid0(VALU_DEP_3) | instskip(SKIP_1) | instid1(VALU_DEP_3)
	v_cndmask_b32_e32 v2, v2, v8, vcc_lo
	v_cmp_lt_u16_e32 vcc_lo, v4, v13
	v_dual_lshrrev_b32 v8, 16, v6 :: v_dual_lshrrev_b32 v4, 16, v3
	v_cndmask_b32_e32 v1, v1, v5, vcc_lo
	v_alignbit_b32 v5, v7, v3, 16
	v_perm_b32 v10, v2, v6, 0x5040100
	v_cndmask_b32_e32 v9, v9, v13, vcc_lo
	v_cmp_lt_u16_e32 vcc_lo, v4, v7
	v_min_u16 v4, v4, v7
	v_cndmask_b32_e32 v3, v3, v5, vcc_lo
	v_cmp_lt_u16_e32 vcc_lo, v2, v8
	v_cndmask_b32_e32 v5, v6, v10, vcc_lo
	s_delay_alu instid0(VALU_DEP_4) | instskip(SKIP_2) | instid1(VALU_DEP_4)
	v_cmp_lt_u16_e64 s0, v4, v9
	v_perm_b32 v6, v2, v6, 0x7060302
	v_perm_b32 v4, v4, v1, 0x5040100
	v_lshrrev_b32_e32 v8, 16, v5
	v_bfi_b32 v7, 0xffff, v9, v3
	v_alignbit_b32 v10, v5, v5, 16
	s_delay_alu instid0(VALU_DEP_3) | instskip(NEXT) | instid1(VALU_DEP_1)
	v_cmp_lt_u16_e64 s1, v8, v5
	v_dual_cndmask_b32 v3, v3, v7, s0 :: v_dual_cndmask_b32 v5, v5, v10, s1
	s_delay_alu instid0(VALU_DEP_1) | instskip(NEXT) | instid1(VALU_DEP_2)
	v_dual_cndmask_b32 v2, v2, v6, vcc_lo :: v_dual_lshrrev_b32 v6, 16, v3
	v_perm_b32 v7, v5, v3, 0x7060302
	s_delay_alu instid0(VALU_DEP_2) | instskip(NEXT) | instid1(VALU_DEP_3)
	v_alignbit_b32 v9, v2, v2, 16
	v_cmp_lt_u16_e32 vcc_lo, v5, v6
	s_delay_alu instid0(VALU_DEP_3) | instskip(NEXT) | instid1(VALU_DEP_1)
	v_dual_lshrrev_b32 v8, 16, v2 :: v_dual_cndmask_b32 v6, v5, v7, vcc_lo
	v_cmp_lt_u16_e64 s1, v8, v2
	v_perm_b32 v5, v5, v3, 0x5040100
	s_delay_alu instid0(VALU_DEP_2) | instskip(NEXT) | instid1(VALU_DEP_2)
	v_dual_cndmask_b32 v7, v2, v9, s1 :: v_dual_lshrrev_b32 v2, 16, v6
	v_cndmask_b32_e32 v3, v3, v5, vcc_lo
	s_delay_alu instid0(VALU_DEP_2) | instskip(NEXT) | instid1(VALU_DEP_3)
	v_perm_b32 v8, v7, v6, 0x5040100
	v_cmp_lt_u16_e64 s1, v7, v2
	v_perm_b32 v9, v7, v6, 0x7060302
	v_cndmask_b32_e64 v2, v1, v4, s0
	s_delay_alu instid0(VALU_DEP_2)
	v_dual_cndmask_b32 v4, v6, v8, s1 :: v_dual_cndmask_b32 v5, v7, v9, s1
	global_store_b128 v0, v[2:5], s[2:3] scale_offset
	s_endpgm
	.section	.rodata,"a",@progbits
	.p2align	6, 0x0
	.amdhsa_kernel _Z9sort_keysILj256ELj8EtN10test_utils4lessEEvPT1_T2_
		.amdhsa_group_segment_fixed_size 0
		.amdhsa_private_segment_fixed_size 0
		.amdhsa_kernarg_size 12
		.amdhsa_user_sgpr_count 2
		.amdhsa_user_sgpr_dispatch_ptr 0
		.amdhsa_user_sgpr_queue_ptr 0
		.amdhsa_user_sgpr_kernarg_segment_ptr 1
		.amdhsa_user_sgpr_dispatch_id 0
		.amdhsa_user_sgpr_kernarg_preload_length 0
		.amdhsa_user_sgpr_kernarg_preload_offset 0
		.amdhsa_user_sgpr_private_segment_size 0
		.amdhsa_wavefront_size32 1
		.amdhsa_uses_dynamic_stack 0
		.amdhsa_enable_private_segment 0
		.amdhsa_system_sgpr_workgroup_id_x 1
		.amdhsa_system_sgpr_workgroup_id_y 0
		.amdhsa_system_sgpr_workgroup_id_z 0
		.amdhsa_system_sgpr_workgroup_info 0
		.amdhsa_system_vgpr_workitem_id 0
		.amdhsa_next_free_vgpr 16
		.amdhsa_next_free_sgpr 5
		.amdhsa_named_barrier_count 0
		.amdhsa_reserve_vcc 1
		.amdhsa_float_round_mode_32 0
		.amdhsa_float_round_mode_16_64 0
		.amdhsa_float_denorm_mode_32 3
		.amdhsa_float_denorm_mode_16_64 3
		.amdhsa_fp16_overflow 0
		.amdhsa_memory_ordered 1
		.amdhsa_forward_progress 1
		.amdhsa_inst_pref_size 10
		.amdhsa_round_robin_scheduling 0
		.amdhsa_exception_fp_ieee_invalid_op 0
		.amdhsa_exception_fp_denorm_src 0
		.amdhsa_exception_fp_ieee_div_zero 0
		.amdhsa_exception_fp_ieee_overflow 0
		.amdhsa_exception_fp_ieee_underflow 0
		.amdhsa_exception_fp_ieee_inexact 0
		.amdhsa_exception_int_div_zero 0
	.end_amdhsa_kernel
	.section	.text._Z9sort_keysILj256ELj8EtN10test_utils4lessEEvPT1_T2_,"axG",@progbits,_Z9sort_keysILj256ELj8EtN10test_utils4lessEEvPT1_T2_,comdat
.Lfunc_end6:
	.size	_Z9sort_keysILj256ELj8EtN10test_utils4lessEEvPT1_T2_, .Lfunc_end6-_Z9sort_keysILj256ELj8EtN10test_utils4lessEEvPT1_T2_
                                        ; -- End function
	.set _Z9sort_keysILj256ELj8EtN10test_utils4lessEEvPT1_T2_.num_vgpr, 16
	.set _Z9sort_keysILj256ELj8EtN10test_utils4lessEEvPT1_T2_.num_agpr, 0
	.set _Z9sort_keysILj256ELj8EtN10test_utils4lessEEvPT1_T2_.numbered_sgpr, 5
	.set _Z9sort_keysILj256ELj8EtN10test_utils4lessEEvPT1_T2_.num_named_barrier, 0
	.set _Z9sort_keysILj256ELj8EtN10test_utils4lessEEvPT1_T2_.private_seg_size, 0
	.set _Z9sort_keysILj256ELj8EtN10test_utils4lessEEvPT1_T2_.uses_vcc, 1
	.set _Z9sort_keysILj256ELj8EtN10test_utils4lessEEvPT1_T2_.uses_flat_scratch, 0
	.set _Z9sort_keysILj256ELj8EtN10test_utils4lessEEvPT1_T2_.has_dyn_sized_stack, 0
	.set _Z9sort_keysILj256ELj8EtN10test_utils4lessEEvPT1_T2_.has_recursion, 0
	.set _Z9sort_keysILj256ELj8EtN10test_utils4lessEEvPT1_T2_.has_indirect_call, 0
	.section	.AMDGPU.csdata,"",@progbits
; Kernel info:
; codeLenInByte = 1240
; TotalNumSgprs: 7
; NumVgprs: 16
; ScratchSize: 0
; MemoryBound: 0
; FloatMode: 240
; IeeeMode: 1
; LDSByteSize: 0 bytes/workgroup (compile time only)
; SGPRBlocks: 0
; VGPRBlocks: 0
; NumSGPRsForWavesPerEU: 7
; NumVGPRsForWavesPerEU: 16
; NamedBarCnt: 0
; Occupancy: 16
; WaveLimiterHint : 0
; COMPUTE_PGM_RSRC2:SCRATCH_EN: 0
; COMPUTE_PGM_RSRC2:USER_SGPR: 2
; COMPUTE_PGM_RSRC2:TRAP_HANDLER: 0
; COMPUTE_PGM_RSRC2:TGID_X_EN: 1
; COMPUTE_PGM_RSRC2:TGID_Y_EN: 0
; COMPUTE_PGM_RSRC2:TGID_Z_EN: 0
; COMPUTE_PGM_RSRC2:TIDIG_COMP_CNT: 0
	.section	.text._Z9sort_keysILj256ELj7EiN10test_utils4lessEEvPT1_T2_,"axG",@progbits,_Z9sort_keysILj256ELj7EiN10test_utils4lessEEvPT1_T2_,comdat
	.protected	_Z9sort_keysILj256ELj7EiN10test_utils4lessEEvPT1_T2_ ; -- Begin function _Z9sort_keysILj256ELj7EiN10test_utils4lessEEvPT1_T2_
	.globl	_Z9sort_keysILj256ELj7EiN10test_utils4lessEEvPT1_T2_
	.p2align	8
	.type	_Z9sort_keysILj256ELj7EiN10test_utils4lessEEvPT1_T2_,@function
_Z9sort_keysILj256ELj7EiN10test_utils4lessEEvPT1_T2_: ; @_Z9sort_keysILj256ELj7EiN10test_utils4lessEEvPT1_T2_
; %bb.0:
	s_load_b64 s[0:1], s[0:1], 0x0
	s_bfe_u32 s2, ttmp6, 0x4000c
	s_and_b32 s3, ttmp6, 15
	s_add_co_i32 s2, s2, 1
	s_getreg_b32 s4, hwreg(HW_REG_IB_STS2, 6, 4)
	s_mul_i32 s2, ttmp9, s2
	v_mul_u32_u24_e32 v0, 7, v0
	s_add_co_i32 s3, s3, s2
	s_cmp_eq_u32 s4, 0
	s_cselect_b32 s2, ttmp9, s3
	s_mov_b32 s3, 0
	s_mulk_i32 s2, 0x700
	v_lshlrev_b32_e32 v7, 2, v0
	s_lshl_b64 s[2:3], s[2:3], 2
	s_wait_kmcnt 0x0
	s_add_nc_u64 s[2:3], s[0:1], s[2:3]
	s_clause 0x1
	global_load_b128 v[0:3], v7, s[2:3]
	global_load_b96 v[4:6], v7, s[2:3] offset:16
	s_wait_loadcnt 0x1
	v_cmp_lt_i32_e32 vcc_lo, v1, v0
	v_max_i32_e32 v10, v1, v0
	v_cmp_lt_i32_e64 s0, v3, v2
	s_wait_loadcnt 0x0
	v_cmp_lt_i32_e64 s1, v5, v4
	v_dual_cndmask_b32 v8, v0, v1, vcc_lo :: v_dual_min_i32 v12, v3, v2
	s_delay_alu instid0(VALU_DEP_3) | instskip(NEXT) | instid1(VALU_DEP_3)
	v_dual_cndmask_b32 v11, v3, v2, s0 :: v_dual_min_i32 v9, v1, v0
	v_cndmask_b32_e64 v13, v5, v4, s1
	v_dual_cndmask_b32 v0, v1, v0, vcc_lo :: v_dual_cndmask_b32 v1, v2, v3, s0
	v_cndmask_b32_e64 v2, v4, v5, s1
	v_cmp_lt_i32_e32 vcc_lo, v12, v10
	v_min_i32_e32 v4, v12, v10
	v_cmp_lt_i32_e64 s0, v6, v13
	v_max_i32_e32 v3, v12, v10
	v_cmp_lt_i32_e64 s1, v12, v9
	v_dual_cndmask_b32 v1, v1, v10 :: v_dual_cndmask_b32 v0, v0, v12
	v_cmp_lt_i32_e32 vcc_lo, v2, v11
	v_dual_cndmask_b32 v5, v6, v13, s0 :: v_dual_cndmask_b32 v6, v13, v6, s0
	s_delay_alu instid0(VALU_DEP_4) | instskip(SKIP_1) | instid1(VALU_DEP_1)
	v_dual_cndmask_b32 v8, v8, v4, s1 :: v_dual_cndmask_b32 v12, v9, v4, s1
	v_dual_cndmask_b32 v10, v2, v11, vcc_lo :: v_dual_cndmask_b32 v2, v11, v2, vcc_lo
	v_cmp_lt_i32_e32 vcc_lo, v6, v10
	v_cndmask_b32_e64 v4, v4, v9, s1
	s_delay_alu instid0(VALU_DEP_3) | instskip(SKIP_2) | instid1(VALU_DEP_3)
	v_cmp_lt_i32_e64 s0, v2, v3
	v_dual_cndmask_b32 v0, v0, v9, s1 :: v_dual_cndmask_b32 v9, v6, v10, vcc_lo
	v_cndmask_b32_e32 v6, v10, v6, vcc_lo
	v_cndmask_b32_e64 v11, v2, v3, s0
	s_delay_alu instid0(VALU_DEP_3) | instskip(SKIP_1) | instid1(VALU_DEP_1)
	v_cmp_lt_i32_e32 vcc_lo, v5, v9
	v_dual_cndmask_b32 v10, v5, v9 :: v_dual_min_i32 v3, v2, v3
	v_dual_cndmask_b32 v1, v1, v2, s0 :: v_dual_min_i32 v13, v3, v4
	v_max_i32_e32 v2, v3, v4
	v_cmp_lt_i32_e64 s1, v6, v11
	v_cmp_lt_i32_e64 s0, v3, v4
	v_cndmask_b32_e32 v5, v9, v5, vcc_lo
	v_cmp_lt_i32_e32 vcc_lo, v13, v12
	s_delay_alu instid0(VALU_DEP_3) | instskip(SKIP_2) | instid1(VALU_DEP_3)
	v_dual_cndmask_b32 v14, v6, v11, s1 :: v_dual_cndmask_b32 v1, v1, v4, s0
	v_dual_cndmask_b32 v0, v0, v3, s0 :: v_dual_cndmask_b32 v3, v11, v6, s1
	v_cndmask_b32_e32 v4, v8, v13, vcc_lo
	v_cmp_lt_i32_e64 s0, v5, v14
	s_delay_alu instid0(VALU_DEP_3) | instskip(NEXT) | instid1(VALU_DEP_4)
	v_dual_cndmask_b32 v0, v0, v12, vcc_lo :: v_dual_min_i32 v8, v13, v12
	v_cmp_lt_i32_e32 vcc_lo, v3, v2
	v_max_i32_e32 v9, v13, v12
	s_delay_alu instid0(VALU_DEP_4) | instskip(SKIP_1) | instid1(VALU_DEP_2)
	v_dual_cndmask_b32 v11, v5, v14, s0 :: v_dual_cndmask_b32 v5, v14, v5, s0
	v_cndmask_b32_e32 v12, v3, v2, vcc_lo
	v_cmp_lt_i32_e64 s0, v10, v11
	s_delay_alu instid0(VALU_DEP_1) | instskip(NEXT) | instid1(VALU_DEP_1)
	v_dual_cndmask_b32 v6, v10, v11, s0 :: v_dual_min_i32 v2, v3, v2
	v_cmp_lt_i32_e64 s1, v2, v9
	v_cndmask_b32_e32 v1, v1, v3, vcc_lo
	v_cmp_lt_i32_e32 vcc_lo, v5, v12
	v_dual_cndmask_b32 v10, v11, v10, s0 :: v_dual_max_i32 v13, v2, v9
	s_delay_alu instid0(VALU_DEP_4) | instskip(SKIP_3) | instid1(VALU_DEP_3)
	v_dual_cndmask_b32 v3, v0, v2, s1 :: v_dual_min_i32 v0, v2, v9
	v_dual_cndmask_b32 v14, v5, v12, vcc_lo :: v_dual_cndmask_b32 v12, v12, v5, vcc_lo
	v_cmp_lt_i32_e32 vcc_lo, v2, v8
	v_cndmask_b32_e64 v2, v1, v9, s1
	v_cmp_lt_i32_e64 s1, v10, v14
	v_cndmask_b32_e32 v1, v3, v8, vcc_lo
	v_cmp_lt_i32_e64 s0, v12, v13
	s_delay_alu instid0(VALU_DEP_3) | instskip(SKIP_1) | instid1(VALU_DEP_3)
	v_dual_cndmask_b32 v0, v4, v0, vcc_lo :: v_dual_cndmask_b32 v5, v10, v14, s1
	v_cndmask_b32_e64 v4, v14, v10, s1
	v_dual_cndmask_b32 v2, v2, v12, s0 :: v_dual_cndmask_b32 v3, v12, v13, s0
	s_clause 0x1
	global_store_b128 v7, v[0:3], s[2:3]
	global_store_b96 v7, v[4:6], s[2:3] offset:16
	s_endpgm
	.section	.rodata,"a",@progbits
	.p2align	6, 0x0
	.amdhsa_kernel _Z9sort_keysILj256ELj7EiN10test_utils4lessEEvPT1_T2_
		.amdhsa_group_segment_fixed_size 0
		.amdhsa_private_segment_fixed_size 0
		.amdhsa_kernarg_size 12
		.amdhsa_user_sgpr_count 2
		.amdhsa_user_sgpr_dispatch_ptr 0
		.amdhsa_user_sgpr_queue_ptr 0
		.amdhsa_user_sgpr_kernarg_segment_ptr 1
		.amdhsa_user_sgpr_dispatch_id 0
		.amdhsa_user_sgpr_kernarg_preload_length 0
		.amdhsa_user_sgpr_kernarg_preload_offset 0
		.amdhsa_user_sgpr_private_segment_size 0
		.amdhsa_wavefront_size32 1
		.amdhsa_uses_dynamic_stack 0
		.amdhsa_enable_private_segment 0
		.amdhsa_system_sgpr_workgroup_id_x 1
		.amdhsa_system_sgpr_workgroup_id_y 0
		.amdhsa_system_sgpr_workgroup_id_z 0
		.amdhsa_system_sgpr_workgroup_info 0
		.amdhsa_system_vgpr_workitem_id 0
		.amdhsa_next_free_vgpr 15
		.amdhsa_next_free_sgpr 5
		.amdhsa_named_barrier_count 0
		.amdhsa_reserve_vcc 1
		.amdhsa_float_round_mode_32 0
		.amdhsa_float_round_mode_16_64 0
		.amdhsa_float_denorm_mode_32 3
		.amdhsa_float_denorm_mode_16_64 3
		.amdhsa_fp16_overflow 0
		.amdhsa_memory_ordered 1
		.amdhsa_forward_progress 1
		.amdhsa_inst_pref_size 5
		.amdhsa_round_robin_scheduling 0
		.amdhsa_exception_fp_ieee_invalid_op 0
		.amdhsa_exception_fp_denorm_src 0
		.amdhsa_exception_fp_ieee_div_zero 0
		.amdhsa_exception_fp_ieee_overflow 0
		.amdhsa_exception_fp_ieee_underflow 0
		.amdhsa_exception_fp_ieee_inexact 0
		.amdhsa_exception_int_div_zero 0
	.end_amdhsa_kernel
	.section	.text._Z9sort_keysILj256ELj7EiN10test_utils4lessEEvPT1_T2_,"axG",@progbits,_Z9sort_keysILj256ELj7EiN10test_utils4lessEEvPT1_T2_,comdat
.Lfunc_end7:
	.size	_Z9sort_keysILj256ELj7EiN10test_utils4lessEEvPT1_T2_, .Lfunc_end7-_Z9sort_keysILj256ELj7EiN10test_utils4lessEEvPT1_T2_
                                        ; -- End function
	.set _Z9sort_keysILj256ELj7EiN10test_utils4lessEEvPT1_T2_.num_vgpr, 15
	.set _Z9sort_keysILj256ELj7EiN10test_utils4lessEEvPT1_T2_.num_agpr, 0
	.set _Z9sort_keysILj256ELj7EiN10test_utils4lessEEvPT1_T2_.numbered_sgpr, 5
	.set _Z9sort_keysILj256ELj7EiN10test_utils4lessEEvPT1_T2_.num_named_barrier, 0
	.set _Z9sort_keysILj256ELj7EiN10test_utils4lessEEvPT1_T2_.private_seg_size, 0
	.set _Z9sort_keysILj256ELj7EiN10test_utils4lessEEvPT1_T2_.uses_vcc, 1
	.set _Z9sort_keysILj256ELj7EiN10test_utils4lessEEvPT1_T2_.uses_flat_scratch, 0
	.set _Z9sort_keysILj256ELj7EiN10test_utils4lessEEvPT1_T2_.has_dyn_sized_stack, 0
	.set _Z9sort_keysILj256ELj7EiN10test_utils4lessEEvPT1_T2_.has_recursion, 0
	.set _Z9sort_keysILj256ELj7EiN10test_utils4lessEEvPT1_T2_.has_indirect_call, 0
	.section	.AMDGPU.csdata,"",@progbits
; Kernel info:
; codeLenInByte = 636
; TotalNumSgprs: 7
; NumVgprs: 15
; ScratchSize: 0
; MemoryBound: 0
; FloatMode: 240
; IeeeMode: 1
; LDSByteSize: 0 bytes/workgroup (compile time only)
; SGPRBlocks: 0
; VGPRBlocks: 0
; NumSGPRsForWavesPerEU: 7
; NumVGPRsForWavesPerEU: 15
; NamedBarCnt: 0
; Occupancy: 16
; WaveLimiterHint : 0
; COMPUTE_PGM_RSRC2:SCRATCH_EN: 0
; COMPUTE_PGM_RSRC2:USER_SGPR: 2
; COMPUTE_PGM_RSRC2:TRAP_HANDLER: 0
; COMPUTE_PGM_RSRC2:TGID_X_EN: 1
; COMPUTE_PGM_RSRC2:TGID_Y_EN: 0
; COMPUTE_PGM_RSRC2:TGID_Z_EN: 0
; COMPUTE_PGM_RSRC2:TIDIG_COMP_CNT: 0
	.section	.text._Z9sort_keysILj256ELj6EfN10test_utils7greaterEEvPT1_T2_,"axG",@progbits,_Z9sort_keysILj256ELj6EfN10test_utils7greaterEEvPT1_T2_,comdat
	.protected	_Z9sort_keysILj256ELj6EfN10test_utils7greaterEEvPT1_T2_ ; -- Begin function _Z9sort_keysILj256ELj6EfN10test_utils7greaterEEvPT1_T2_
	.globl	_Z9sort_keysILj256ELj6EfN10test_utils7greaterEEvPT1_T2_
	.p2align	8
	.type	_Z9sort_keysILj256ELj6EfN10test_utils7greaterEEvPT1_T2_,@function
_Z9sort_keysILj256ELj6EfN10test_utils7greaterEEvPT1_T2_: ; @_Z9sort_keysILj256ELj6EfN10test_utils7greaterEEvPT1_T2_
; %bb.0:
	s_load_b64 s[0:1], s[0:1], 0x0
	s_bfe_u32 s2, ttmp6, 0x4000c
	s_and_b32 s3, ttmp6, 15
	s_add_co_i32 s2, s2, 1
	s_getreg_b32 s4, hwreg(HW_REG_IB_STS2, 6, 4)
	s_mul_i32 s2, ttmp9, s2
	v_mul_u32_u24_e32 v0, 6, v0
	s_add_co_i32 s3, s3, s2
	s_cmp_eq_u32 s4, 0
	s_cselect_b32 s2, ttmp9, s3
	s_mov_b32 s3, 0
	s_mulk_i32 s2, 0x600
	v_lshlrev_b32_e32 v6, 2, v0
	s_lshl_b64 s[2:3], s[2:3], 2
	s_wait_kmcnt 0x0
	s_add_nc_u64 s[2:3], s[0:1], s[2:3]
	s_clause 0x1
	global_load_b128 v[0:3], v6, s[2:3]
	global_load_b64 v[4:5], v6, s[2:3] offset:16
	s_wait_loadcnt 0x1
	v_cmp_gt_f32_e32 vcc_lo, v1, v0
	v_cmp_gt_f32_e64 s0, v3, v2
	s_wait_loadcnt 0x0
	v_cmp_gt_f32_e64 s1, v5, v4
	v_dual_cndmask_b32 v7, v0, v1 :: v_dual_cndmask_b32 v0, v1, v0
	s_delay_alu instid0(VALU_DEP_3) | instskip(NEXT) | instid1(VALU_DEP_3)
	v_dual_cndmask_b32 v1, v2, v3, s0 :: v_dual_cndmask_b32 v8, v3, v2, s0
	v_cndmask_b32_e64 v9, v5, v4, s1
	s_delay_alu instid0(VALU_DEP_2) | instskip(SKIP_1) | instid1(VALU_DEP_1)
	v_cmp_gt_f32_e32 vcc_lo, v1, v0
	v_dual_cndmask_b32 v2, v4, v5, s1 :: v_dual_cndmask_b32 v4, v1, v0, vcc_lo
	v_cmp_gt_f32_e64 s0, v2, v8
	s_delay_alu instid0(VALU_DEP_1) | instskip(NEXT) | instid1(VALU_DEP_1)
	v_dual_cndmask_b32 v0, v0, v1, vcc_lo :: v_dual_cndmask_b32 v3, v2, v8, s0
	v_cmp_gt_f32_e32 vcc_lo, v9, v3
	v_cndmask_b32_e64 v1, v8, v2, s0
	s_delay_alu instid0(VALU_DEP_3) | instskip(SKIP_1) | instid1(VALU_DEP_3)
	v_cmp_gt_f32_e64 s0, v0, v7
	v_cndmask_b32_e32 v2, v9, v3, vcc_lo
	v_cmp_gt_f32_e64 s1, v1, v4
	v_cndmask_b32_e32 v3, v3, v9, vcc_lo
	s_delay_alu instid0(VALU_DEP_4) | instskip(NEXT) | instid1(VALU_DEP_3)
	v_dual_cndmask_b32 v8, v7, v0, s0 :: v_dual_cndmask_b32 v0, v0, v7, s0
	v_cndmask_b32_e64 v5, v1, v4, s1
	s_delay_alu instid0(VALU_DEP_1) | instskip(SKIP_2) | instid1(VALU_DEP_2)
	v_cmp_gt_f32_e32 vcc_lo, v3, v5
	v_cndmask_b32_e64 v1, v4, v1, s1
	v_dual_cndmask_b32 v4, v3, v5 :: v_dual_cndmask_b32 v3, v5, v3
	v_cmp_gt_f32_e64 s0, v1, v0
	s_delay_alu instid0(VALU_DEP_1) | instskip(NEXT) | instid1(VALU_DEP_3)
	v_cndmask_b32_e64 v7, v1, v0, s0
	v_cmp_gt_f32_e32 vcc_lo, v2, v4
	v_cndmask_b32_e64 v1, v0, v1, s0
	s_delay_alu instid0(VALU_DEP_3) | instskip(SKIP_1) | instid1(VALU_DEP_3)
	v_cmp_gt_f32_e64 s0, v3, v7
	v_cndmask_b32_e32 v5, v2, v4, vcc_lo
	v_cmp_gt_f32_e64 s1, v1, v8
	s_delay_alu instid0(VALU_DEP_3) | instskip(NEXT) | instid1(VALU_DEP_2)
	v_dual_cndmask_b32 v2, v4, v2, vcc_lo :: v_dual_cndmask_b32 v9, v3, v7, s0
	v_dual_cndmask_b32 v7, v7, v3, s0 :: v_dual_cndmask_b32 v0, v8, v1, s1
	s_delay_alu instid0(VALU_DEP_2) | instskip(SKIP_1) | instid1(VALU_DEP_1)
	v_cmp_gt_f32_e32 vcc_lo, v2, v9
	v_dual_cndmask_b32 v1, v1, v8, s1 :: v_dual_cndmask_b32 v4, v2, v9, vcc_lo
	v_cmp_gt_f32_e64 s0, v7, v1
	s_delay_alu instid0(VALU_DEP_1)
	v_dual_cndmask_b32 v3, v9, v2, vcc_lo :: v_dual_cndmask_b32 v2, v7, v1, s0
	v_cndmask_b32_e64 v1, v1, v7, s0
	s_clause 0x1
	global_store_b128 v6, v[0:3], s[2:3]
	global_store_b64 v6, v[4:5], s[2:3] offset:16
	s_endpgm
	.section	.rodata,"a",@progbits
	.p2align	6, 0x0
	.amdhsa_kernel _Z9sort_keysILj256ELj6EfN10test_utils7greaterEEvPT1_T2_
		.amdhsa_group_segment_fixed_size 0
		.amdhsa_private_segment_fixed_size 0
		.amdhsa_kernarg_size 12
		.amdhsa_user_sgpr_count 2
		.amdhsa_user_sgpr_dispatch_ptr 0
		.amdhsa_user_sgpr_queue_ptr 0
		.amdhsa_user_sgpr_kernarg_segment_ptr 1
		.amdhsa_user_sgpr_dispatch_id 0
		.amdhsa_user_sgpr_kernarg_preload_length 0
		.amdhsa_user_sgpr_kernarg_preload_offset 0
		.amdhsa_user_sgpr_private_segment_size 0
		.amdhsa_wavefront_size32 1
		.amdhsa_uses_dynamic_stack 0
		.amdhsa_enable_private_segment 0
		.amdhsa_system_sgpr_workgroup_id_x 1
		.amdhsa_system_sgpr_workgroup_id_y 0
		.amdhsa_system_sgpr_workgroup_id_z 0
		.amdhsa_system_sgpr_workgroup_info 0
		.amdhsa_system_vgpr_workitem_id 0
		.amdhsa_next_free_vgpr 10
		.amdhsa_next_free_sgpr 5
		.amdhsa_named_barrier_count 0
		.amdhsa_reserve_vcc 1
		.amdhsa_float_round_mode_32 0
		.amdhsa_float_round_mode_16_64 0
		.amdhsa_float_denorm_mode_32 3
		.amdhsa_float_denorm_mode_16_64 3
		.amdhsa_fp16_overflow 0
		.amdhsa_memory_ordered 1
		.amdhsa_forward_progress 1
		.amdhsa_inst_pref_size 4
		.amdhsa_round_robin_scheduling 0
		.amdhsa_exception_fp_ieee_invalid_op 0
		.amdhsa_exception_fp_denorm_src 0
		.amdhsa_exception_fp_ieee_div_zero 0
		.amdhsa_exception_fp_ieee_overflow 0
		.amdhsa_exception_fp_ieee_underflow 0
		.amdhsa_exception_fp_ieee_inexact 0
		.amdhsa_exception_int_div_zero 0
	.end_amdhsa_kernel
	.section	.text._Z9sort_keysILj256ELj6EfN10test_utils7greaterEEvPT1_T2_,"axG",@progbits,_Z9sort_keysILj256ELj6EfN10test_utils7greaterEEvPT1_T2_,comdat
.Lfunc_end8:
	.size	_Z9sort_keysILj256ELj6EfN10test_utils7greaterEEvPT1_T2_, .Lfunc_end8-_Z9sort_keysILj256ELj6EfN10test_utils7greaterEEvPT1_T2_
                                        ; -- End function
	.set _Z9sort_keysILj256ELj6EfN10test_utils7greaterEEvPT1_T2_.num_vgpr, 10
	.set _Z9sort_keysILj256ELj6EfN10test_utils7greaterEEvPT1_T2_.num_agpr, 0
	.set _Z9sort_keysILj256ELj6EfN10test_utils7greaterEEvPT1_T2_.numbered_sgpr, 5
	.set _Z9sort_keysILj256ELj6EfN10test_utils7greaterEEvPT1_T2_.num_named_barrier, 0
	.set _Z9sort_keysILj256ELj6EfN10test_utils7greaterEEvPT1_T2_.private_seg_size, 0
	.set _Z9sort_keysILj256ELj6EfN10test_utils7greaterEEvPT1_T2_.uses_vcc, 1
	.set _Z9sort_keysILj256ELj6EfN10test_utils7greaterEEvPT1_T2_.uses_flat_scratch, 0
	.set _Z9sort_keysILj256ELj6EfN10test_utils7greaterEEvPT1_T2_.has_dyn_sized_stack, 0
	.set _Z9sort_keysILj256ELj6EfN10test_utils7greaterEEvPT1_T2_.has_recursion, 0
	.set _Z9sort_keysILj256ELj6EfN10test_utils7greaterEEvPT1_T2_.has_indirect_call, 0
	.section	.AMDGPU.csdata,"",@progbits
; Kernel info:
; codeLenInByte = 460
; TotalNumSgprs: 7
; NumVgprs: 10
; ScratchSize: 0
; MemoryBound: 0
; FloatMode: 240
; IeeeMode: 1
; LDSByteSize: 0 bytes/workgroup (compile time only)
; SGPRBlocks: 0
; VGPRBlocks: 0
; NumSGPRsForWavesPerEU: 7
; NumVGPRsForWavesPerEU: 10
; NamedBarCnt: 0
; Occupancy: 16
; WaveLimiterHint : 0
; COMPUTE_PGM_RSRC2:SCRATCH_EN: 0
; COMPUTE_PGM_RSRC2:USER_SGPR: 2
; COMPUTE_PGM_RSRC2:TRAP_HANDLER: 0
; COMPUTE_PGM_RSRC2:TGID_X_EN: 1
; COMPUTE_PGM_RSRC2:TGID_Y_EN: 0
; COMPUTE_PGM_RSRC2:TGID_Z_EN: 0
; COMPUTE_PGM_RSRC2:TIDIG_COMP_CNT: 0
	.section	.text._Z9sort_keysILj256ELj5EtN10test_utils4lessEEvPT1_T2_,"axG",@progbits,_Z9sort_keysILj256ELj5EtN10test_utils4lessEEvPT1_T2_,comdat
	.protected	_Z9sort_keysILj256ELj5EtN10test_utils4lessEEvPT1_T2_ ; -- Begin function _Z9sort_keysILj256ELj5EtN10test_utils4lessEEvPT1_T2_
	.globl	_Z9sort_keysILj256ELj5EtN10test_utils4lessEEvPT1_T2_
	.p2align	8
	.type	_Z9sort_keysILj256ELj5EtN10test_utils4lessEEvPT1_T2_,@function
_Z9sort_keysILj256ELj5EtN10test_utils4lessEEvPT1_T2_: ; @_Z9sort_keysILj256ELj5EtN10test_utils4lessEEvPT1_T2_
; %bb.0:
	s_load_b64 s[0:1], s[0:1], 0x0
	s_bfe_u32 s2, ttmp6, 0x4000c
	s_and_b32 s3, ttmp6, 15
	s_add_co_i32 s2, s2, 1
	s_getreg_b32 s4, hwreg(HW_REG_IB_STS2, 6, 4)
	s_mul_i32 s2, ttmp9, s2
	v_mul_u32_u24_e32 v2, 5, v0
	s_add_co_i32 s3, s3, s2
	s_cmp_eq_u32 s4, 0
	s_cselect_b32 s2, ttmp9, s3
	s_mov_b32 s3, 0
	s_mulk_i32 s2, 0x500
	v_lshlrev_b32_e32 v3, 1, v2
	s_lshl_b64 s[2:3], s[2:3], 1
	s_wait_kmcnt 0x0
	s_add_nc_u64 s[2:3], s[0:1], s[2:3]
	s_clause 0x1
	global_load_b64 v[0:1], v3, s[2:3]
	global_load_u16 v4, v2, s[2:3] offset:8 scale_offset
	s_wait_loadcnt 0x1
	v_lshrrev_b32_e32 v5, 16, v0
	v_alignbit_b32 v6, v0, v0, 16
	v_alignbit_b32 v8, v1, v1, 16
	s_delay_alu instid0(VALU_DEP_3) | instskip(SKIP_3) | instid1(VALU_DEP_3)
	v_cmp_lt_u16_e32 vcc_lo, v5, v0
	v_lshrrev_b32_e32 v7, 16, v1
	v_max_u16 v9, v5, v0
	v_cndmask_b32_e32 v6, v0, v6, vcc_lo
	v_min_u16 v10, v7, v1
	v_cmp_lt_u16_e32 vcc_lo, v7, v1
	v_min_u16 v0, v5, v0
	s_delay_alu instid0(VALU_DEP_3)
	v_perm_b32 v7, v10, v6, 0x5040100
	v_cndmask_b32_e32 v1, v1, v8, vcc_lo
	v_cmp_lt_u16_e32 vcc_lo, v10, v9
	v_min_u16 v5, v10, v9
	v_cmp_lt_u16_e64 s0, v10, v0
	v_cndmask_b32_e32 v6, v6, v7, vcc_lo
	v_bfi_b32 v8, 0xffff, v9, v1
	s_delay_alu instid0(VALU_DEP_1) | instskip(NEXT) | instid1(VALU_DEP_1)
	v_cndmask_b32_e32 v1, v1, v8, vcc_lo
	v_lshrrev_b32_e32 v7, 16, v1
	s_wait_loadcnt 0x0
	v_perm_b32 v8, v4, v1, 0x5040100
	s_delay_alu instid0(VALU_DEP_2) | instskip(SKIP_1) | instid1(VALU_DEP_3)
	v_cmp_lt_u16_e32 vcc_lo, v4, v7
	v_bfi_b32 v4, 0xffff, v4, s0
	v_cndmask_b32_e32 v7, v1, v8, vcc_lo
	v_max_u16 v8, v10, v9
	v_perm_b32 v9, v0, v5, 0x5040100
	s_delay_alu instid0(VALU_DEP_1) | instskip(NEXT) | instid1(VALU_DEP_3)
	v_dual_cndmask_b32 v6, v6, v9, s0 :: v_dual_lshrrev_b32 v10, 16, v7
	v_alignbit_b32 v11, v8, v7, 16
	v_cndmask_b32_e64 v9, v5, v0, s0
	v_alignbit_b32 v1, s0, v1, 16
	v_cndmask_b32_e64 v0, v0, v5, s0
	v_cmp_lt_u16_e64 s1, v10, v8
	v_min_u16 v8, v10, v8
	s_delay_alu instid0(VALU_DEP_2) | instskip(NEXT) | instid1(VALU_DEP_2)
	v_dual_cndmask_b32 v1, v4, v1, vcc_lo :: v_dual_cndmask_b32 v7, v7, v11, s1
	v_cmp_lt_u16_e64 s1, v8, v9
	v_perm_b32 v5, v8, v6, 0x5040100
	v_min_u16 v11, v8, v9
	v_max_u16 v8, v8, v9
	v_bfi_b32 v10, 0xffff, v9, v7
	s_delay_alu instid0(VALU_DEP_4) | instskip(NEXT) | instid1(VALU_DEP_4)
	v_cndmask_b32_e64 v5, v6, v5, s1
	v_perm_b32 v6, v0, v11, 0x5040100
	s_delay_alu instid0(VALU_DEP_3) | instskip(NEXT) | instid1(VALU_DEP_1)
	v_cndmask_b32_e64 v7, v7, v10, s1
	v_lshrrev_b32_e32 v4, 16, v7
	v_perm_b32 v10, v1, v7, 0x5040100
	s_delay_alu instid0(VALU_DEP_2) | instskip(NEXT) | instid1(VALU_DEP_2)
	v_cmp_lt_u16_e32 vcc_lo, v1, v4
	v_cndmask_b32_e32 v4, v7, v10, vcc_lo
	v_alignbit_b32 v7, s0, v7, 16
	v_cmp_lt_u16_e64 s0, v11, v0
	s_delay_alu instid0(VALU_DEP_1) | instskip(NEXT) | instid1(VALU_DEP_3)
	v_cndmask_b32_e64 v0, v5, v6, s0
	v_cndmask_b32_e32 v5, v1, v7, vcc_lo
	v_alignbit_b32 v10, v8, v4, 16
	v_lshrrev_b32_e32 v9, 16, v4
	s_delay_alu instid0(VALU_DEP_1) | instskip(NEXT) | instid1(VALU_DEP_3)
	v_cmp_lt_u16_e32 vcc_lo, v9, v8
	v_cndmask_b32_e32 v1, v4, v10, vcc_lo
	s_clause 0x1
	global_store_b16 v2, v5, s[2:3] offset:8 scale_offset
	global_store_b64 v3, v[0:1], s[2:3]
	s_endpgm
	.section	.rodata,"a",@progbits
	.p2align	6, 0x0
	.amdhsa_kernel _Z9sort_keysILj256ELj5EtN10test_utils4lessEEvPT1_T2_
		.amdhsa_group_segment_fixed_size 0
		.amdhsa_private_segment_fixed_size 0
		.amdhsa_kernarg_size 12
		.amdhsa_user_sgpr_count 2
		.amdhsa_user_sgpr_dispatch_ptr 0
		.amdhsa_user_sgpr_queue_ptr 0
		.amdhsa_user_sgpr_kernarg_segment_ptr 1
		.amdhsa_user_sgpr_dispatch_id 0
		.amdhsa_user_sgpr_kernarg_preload_length 0
		.amdhsa_user_sgpr_kernarg_preload_offset 0
		.amdhsa_user_sgpr_private_segment_size 0
		.amdhsa_wavefront_size32 1
		.amdhsa_uses_dynamic_stack 0
		.amdhsa_enable_private_segment 0
		.amdhsa_system_sgpr_workgroup_id_x 1
		.amdhsa_system_sgpr_workgroup_id_y 0
		.amdhsa_system_sgpr_workgroup_id_z 0
		.amdhsa_system_sgpr_workgroup_info 0
		.amdhsa_system_vgpr_workitem_id 0
		.amdhsa_next_free_vgpr 12
		.amdhsa_next_free_sgpr 5
		.amdhsa_named_barrier_count 0
		.amdhsa_reserve_vcc 1
		.amdhsa_float_round_mode_32 0
		.amdhsa_float_round_mode_16_64 0
		.amdhsa_float_denorm_mode_32 3
		.amdhsa_float_denorm_mode_16_64 3
		.amdhsa_fp16_overflow 0
		.amdhsa_memory_ordered 1
		.amdhsa_forward_progress 1
		.amdhsa_inst_pref_size 5
		.amdhsa_round_robin_scheduling 0
		.amdhsa_exception_fp_ieee_invalid_op 0
		.amdhsa_exception_fp_denorm_src 0
		.amdhsa_exception_fp_ieee_div_zero 0
		.amdhsa_exception_fp_ieee_overflow 0
		.amdhsa_exception_fp_ieee_underflow 0
		.amdhsa_exception_fp_ieee_inexact 0
		.amdhsa_exception_int_div_zero 0
	.end_amdhsa_kernel
	.section	.text._Z9sort_keysILj256ELj5EtN10test_utils4lessEEvPT1_T2_,"axG",@progbits,_Z9sort_keysILj256ELj5EtN10test_utils4lessEEvPT1_T2_,comdat
.Lfunc_end9:
	.size	_Z9sort_keysILj256ELj5EtN10test_utils4lessEEvPT1_T2_, .Lfunc_end9-_Z9sort_keysILj256ELj5EtN10test_utils4lessEEvPT1_T2_
                                        ; -- End function
	.set _Z9sort_keysILj256ELj5EtN10test_utils4lessEEvPT1_T2_.num_vgpr, 12
	.set _Z9sort_keysILj256ELj5EtN10test_utils4lessEEvPT1_T2_.num_agpr, 0
	.set _Z9sort_keysILj256ELj5EtN10test_utils4lessEEvPT1_T2_.numbered_sgpr, 5
	.set _Z9sort_keysILj256ELj5EtN10test_utils4lessEEvPT1_T2_.num_named_barrier, 0
	.set _Z9sort_keysILj256ELj5EtN10test_utils4lessEEvPT1_T2_.private_seg_size, 0
	.set _Z9sort_keysILj256ELj5EtN10test_utils4lessEEvPT1_T2_.uses_vcc, 1
	.set _Z9sort_keysILj256ELj5EtN10test_utils4lessEEvPT1_T2_.uses_flat_scratch, 0
	.set _Z9sort_keysILj256ELj5EtN10test_utils4lessEEvPT1_T2_.has_dyn_sized_stack, 0
	.set _Z9sort_keysILj256ELj5EtN10test_utils4lessEEvPT1_T2_.has_recursion, 0
	.set _Z9sort_keysILj256ELj5EtN10test_utils4lessEEvPT1_T2_.has_indirect_call, 0
	.section	.AMDGPU.csdata,"",@progbits
; Kernel info:
; codeLenInByte = 576
; TotalNumSgprs: 7
; NumVgprs: 12
; ScratchSize: 0
; MemoryBound: 0
; FloatMode: 240
; IeeeMode: 1
; LDSByteSize: 0 bytes/workgroup (compile time only)
; SGPRBlocks: 0
; VGPRBlocks: 0
; NumSGPRsForWavesPerEU: 7
; NumVGPRsForWavesPerEU: 12
; NamedBarCnt: 0
; Occupancy: 16
; WaveLimiterHint : 0
; COMPUTE_PGM_RSRC2:SCRATCH_EN: 0
; COMPUTE_PGM_RSRC2:USER_SGPR: 2
; COMPUTE_PGM_RSRC2:TRAP_HANDLER: 0
; COMPUTE_PGM_RSRC2:TGID_X_EN: 1
; COMPUTE_PGM_RSRC2:TGID_Y_EN: 0
; COMPUTE_PGM_RSRC2:TGID_Z_EN: 0
; COMPUTE_PGM_RSRC2:TIDIG_COMP_CNT: 0
	.section	.text._Z9sort_keysILj256ELj4EjN10test_utils4lessEEvPT1_T2_,"axG",@progbits,_Z9sort_keysILj256ELj4EjN10test_utils4lessEEvPT1_T2_,comdat
	.protected	_Z9sort_keysILj256ELj4EjN10test_utils4lessEEvPT1_T2_ ; -- Begin function _Z9sort_keysILj256ELj4EjN10test_utils4lessEEvPT1_T2_
	.globl	_Z9sort_keysILj256ELj4EjN10test_utils4lessEEvPT1_T2_
	.p2align	8
	.type	_Z9sort_keysILj256ELj4EjN10test_utils4lessEEvPT1_T2_,@function
_Z9sort_keysILj256ELj4EjN10test_utils4lessEEvPT1_T2_: ; @_Z9sort_keysILj256ELj4EjN10test_utils4lessEEvPT1_T2_
; %bb.0:
	s_load_b64 s[0:1], s[0:1], 0x0
	s_bfe_u32 s2, ttmp6, 0x4000c
	s_and_b32 s3, ttmp6, 15
	s_add_co_i32 s2, s2, 1
	s_getreg_b32 s4, hwreg(HW_REG_IB_STS2, 6, 4)
	s_mul_i32 s2, ttmp9, s2
	s_delay_alu instid0(SALU_CYCLE_1) | instskip(SKIP_4) | instid1(SALU_CYCLE_1)
	s_add_co_i32 s3, s3, s2
	s_cmp_eq_u32 s4, 0
	s_cselect_b32 s2, ttmp9, s3
	s_mov_b32 s3, 0
	s_lshl_b32 s2, s2, 10
	s_lshl_b64 s[2:3], s[2:3], 2
	s_wait_kmcnt 0x0
	s_add_nc_u64 s[2:3], s[0:1], s[2:3]
	global_load_b128 v[2:5], v0, s[2:3] scale_offset
	s_wait_loadcnt 0x0
	v_cmp_lt_u32_e32 vcc_lo, v3, v2
	v_min_u32_e32 v6, v3, v2
	v_max_u32_e32 v7, v3, v2
	v_cmp_lt_u32_e64 s0, v5, v4
	v_min_u32_e32 v8, v5, v4
	v_max_u32_e32 v10, v5, v4
	v_dual_cndmask_b32 v1, v2, v3 :: v_dual_cndmask_b32 v2, v3, v2
	s_delay_alu instid0(VALU_DEP_4) | instskip(NEXT) | instid1(VALU_DEP_4)
	v_dual_cndmask_b32 v3, v4, v5, s0 :: v_dual_cndmask_b32 v9, v5, v4, s0
	v_cmp_lt_u32_e32 vcc_lo, v8, v7
	v_max_u32_e32 v4, v8, v7
	v_min_u32_e32 v5, v8, v7
	v_cmp_lt_u32_e64 s0, v8, v6
	v_cmp_gt_u32_e64 s1, v7, v10
	v_dual_cndmask_b32 v3, v3, v7, vcc_lo :: v_dual_cndmask_b32 v7, v2, v8, vcc_lo
	s_delay_alu instid0(VALU_DEP_2) | instskip(NEXT) | instid1(VALU_DEP_2)
	v_dual_cndmask_b32 v2, v1, v5, s0 :: v_dual_cndmask_b32 v8, v4, v10, s1
	v_dual_cndmask_b32 v1, v5, v6, s0 :: v_dual_cndmask_b32 v6, v7, v6, s0
	s_delay_alu instid0(VALU_DEP_3) | instskip(NEXT) | instid1(VALU_DEP_2)
	v_dual_cndmask_b32 v5, v9, v4, s1 :: v_dual_cndmask_b32 v3, v3, v10, s1
	v_cmp_lt_u32_e32 vcc_lo, v8, v1
	s_delay_alu instid0(VALU_DEP_2)
	v_dual_cndmask_b32 v4, v3, v1 :: v_dual_cndmask_b32 v3, v6, v8
	global_store_b128 v0, v[2:5], s[2:3] scale_offset
	s_endpgm
	.section	.rodata,"a",@progbits
	.p2align	6, 0x0
	.amdhsa_kernel _Z9sort_keysILj256ELj4EjN10test_utils4lessEEvPT1_T2_
		.amdhsa_group_segment_fixed_size 0
		.amdhsa_private_segment_fixed_size 0
		.amdhsa_kernarg_size 12
		.amdhsa_user_sgpr_count 2
		.amdhsa_user_sgpr_dispatch_ptr 0
		.amdhsa_user_sgpr_queue_ptr 0
		.amdhsa_user_sgpr_kernarg_segment_ptr 1
		.amdhsa_user_sgpr_dispatch_id 0
		.amdhsa_user_sgpr_kernarg_preload_length 0
		.amdhsa_user_sgpr_kernarg_preload_offset 0
		.amdhsa_user_sgpr_private_segment_size 0
		.amdhsa_wavefront_size32 1
		.amdhsa_uses_dynamic_stack 0
		.amdhsa_enable_private_segment 0
		.amdhsa_system_sgpr_workgroup_id_x 1
		.amdhsa_system_sgpr_workgroup_id_y 0
		.amdhsa_system_sgpr_workgroup_id_z 0
		.amdhsa_system_sgpr_workgroup_info 0
		.amdhsa_system_vgpr_workitem_id 0
		.amdhsa_next_free_vgpr 11
		.amdhsa_next_free_sgpr 5
		.amdhsa_named_barrier_count 0
		.amdhsa_reserve_vcc 1
		.amdhsa_float_round_mode_32 0
		.amdhsa_float_round_mode_16_64 0
		.amdhsa_float_denorm_mode_32 3
		.amdhsa_float_denorm_mode_16_64 3
		.amdhsa_fp16_overflow 0
		.amdhsa_memory_ordered 1
		.amdhsa_forward_progress 1
		.amdhsa_inst_pref_size 2
		.amdhsa_round_robin_scheduling 0
		.amdhsa_exception_fp_ieee_invalid_op 0
		.amdhsa_exception_fp_denorm_src 0
		.amdhsa_exception_fp_ieee_div_zero 0
		.amdhsa_exception_fp_ieee_overflow 0
		.amdhsa_exception_fp_ieee_underflow 0
		.amdhsa_exception_fp_ieee_inexact 0
		.amdhsa_exception_int_div_zero 0
	.end_amdhsa_kernel
	.section	.text._Z9sort_keysILj256ELj4EjN10test_utils4lessEEvPT1_T2_,"axG",@progbits,_Z9sort_keysILj256ELj4EjN10test_utils4lessEEvPT1_T2_,comdat
.Lfunc_end10:
	.size	_Z9sort_keysILj256ELj4EjN10test_utils4lessEEvPT1_T2_, .Lfunc_end10-_Z9sort_keysILj256ELj4EjN10test_utils4lessEEvPT1_T2_
                                        ; -- End function
	.set _Z9sort_keysILj256ELj4EjN10test_utils4lessEEvPT1_T2_.num_vgpr, 11
	.set _Z9sort_keysILj256ELj4EjN10test_utils4lessEEvPT1_T2_.num_agpr, 0
	.set _Z9sort_keysILj256ELj4EjN10test_utils4lessEEvPT1_T2_.numbered_sgpr, 5
	.set _Z9sort_keysILj256ELj4EjN10test_utils4lessEEvPT1_T2_.num_named_barrier, 0
	.set _Z9sort_keysILj256ELj4EjN10test_utils4lessEEvPT1_T2_.private_seg_size, 0
	.set _Z9sort_keysILj256ELj4EjN10test_utils4lessEEvPT1_T2_.uses_vcc, 1
	.set _Z9sort_keysILj256ELj4EjN10test_utils4lessEEvPT1_T2_.uses_flat_scratch, 0
	.set _Z9sort_keysILj256ELj4EjN10test_utils4lessEEvPT1_T2_.has_dyn_sized_stack, 0
	.set _Z9sort_keysILj256ELj4EjN10test_utils4lessEEvPT1_T2_.has_recursion, 0
	.set _Z9sort_keysILj256ELj4EjN10test_utils4lessEEvPT1_T2_.has_indirect_call, 0
	.section	.AMDGPU.csdata,"",@progbits
; Kernel info:
; codeLenInByte = 252
; TotalNumSgprs: 7
; NumVgprs: 11
; ScratchSize: 0
; MemoryBound: 0
; FloatMode: 240
; IeeeMode: 1
; LDSByteSize: 0 bytes/workgroup (compile time only)
; SGPRBlocks: 0
; VGPRBlocks: 0
; NumSGPRsForWavesPerEU: 7
; NumVGPRsForWavesPerEU: 11
; NamedBarCnt: 0
; Occupancy: 16
; WaveLimiterHint : 0
; COMPUTE_PGM_RSRC2:SCRATCH_EN: 0
; COMPUTE_PGM_RSRC2:USER_SGPR: 2
; COMPUTE_PGM_RSRC2:TRAP_HANDLER: 0
; COMPUTE_PGM_RSRC2:TGID_X_EN: 1
; COMPUTE_PGM_RSRC2:TGID_Y_EN: 0
; COMPUTE_PGM_RSRC2:TGID_Z_EN: 0
; COMPUTE_PGM_RSRC2:TIDIG_COMP_CNT: 0
	.section	.text._Z9sort_keysILj256ELj3EiN10test_utils4lessEEvPT1_T2_,"axG",@progbits,_Z9sort_keysILj256ELj3EiN10test_utils4lessEEvPT1_T2_,comdat
	.protected	_Z9sort_keysILj256ELj3EiN10test_utils4lessEEvPT1_T2_ ; -- Begin function _Z9sort_keysILj256ELj3EiN10test_utils4lessEEvPT1_T2_
	.globl	_Z9sort_keysILj256ELj3EiN10test_utils4lessEEvPT1_T2_
	.p2align	8
	.type	_Z9sort_keysILj256ELj3EiN10test_utils4lessEEvPT1_T2_,@function
_Z9sort_keysILj256ELj3EiN10test_utils4lessEEvPT1_T2_: ; @_Z9sort_keysILj256ELj3EiN10test_utils4lessEEvPT1_T2_
; %bb.0:
	s_load_b64 s[0:1], s[0:1], 0x0
	s_bfe_u32 s2, ttmp6, 0x4000c
	s_and_b32 s3, ttmp6, 15
	s_add_co_i32 s2, s2, 1
	s_getreg_b32 s4, hwreg(HW_REG_IB_STS2, 6, 4)
	s_mul_i32 s2, ttmp9, s2
	v_mul_u32_u24_e32 v0, 3, v0
	s_add_co_i32 s3, s3, s2
	s_cmp_eq_u32 s4, 0
	s_cselect_b32 s2, ttmp9, s3
	s_mov_b32 s3, 0
	s_mulk_i32 s2, 0x300
	v_lshlrev_b32_e32 v5, 2, v0
	s_lshl_b64 s[2:3], s[2:3], 2
	s_wait_kmcnt 0x0
	s_add_nc_u64 s[0:1], s[0:1], s[2:3]
	global_load_b96 v[0:2], v5, s[0:1]
	s_wait_loadcnt 0x0
	v_cmp_lt_i32_e32 vcc_lo, v1, v0
	v_dual_cndmask_b32 v6, v0, v1 :: v_dual_max_i32 v3, v1, v0
	v_cndmask_b32_e32 v7, v1, v0, vcc_lo
	s_delay_alu instid0(VALU_DEP_2) | instskip(SKIP_2) | instid1(VALU_DEP_4)
	v_cmp_lt_i32_e32 vcc_lo, v2, v3
	v_min_i32_e32 v0, v1, v0
	v_dual_cndmask_b32 v4, v2, v3 :: v_dual_min_i32 v1, v2, v3
	v_cndmask_b32_e32 v3, v7, v2, vcc_lo
	s_delay_alu instid0(VALU_DEP_3) | instskip(NEXT) | instid1(VALU_DEP_2)
	v_cmp_lt_i32_e32 vcc_lo, v2, v0
	v_dual_cndmask_b32 v2, v6, v1 :: v_dual_cndmask_b32 v3, v3, v0
	global_store_b96 v5, v[2:4], s[0:1]
	s_endpgm
	.section	.rodata,"a",@progbits
	.p2align	6, 0x0
	.amdhsa_kernel _Z9sort_keysILj256ELj3EiN10test_utils4lessEEvPT1_T2_
		.amdhsa_group_segment_fixed_size 0
		.amdhsa_private_segment_fixed_size 0
		.amdhsa_kernarg_size 12
		.amdhsa_user_sgpr_count 2
		.amdhsa_user_sgpr_dispatch_ptr 0
		.amdhsa_user_sgpr_queue_ptr 0
		.amdhsa_user_sgpr_kernarg_segment_ptr 1
		.amdhsa_user_sgpr_dispatch_id 0
		.amdhsa_user_sgpr_kernarg_preload_length 0
		.amdhsa_user_sgpr_kernarg_preload_offset 0
		.amdhsa_user_sgpr_private_segment_size 0
		.amdhsa_wavefront_size32 1
		.amdhsa_uses_dynamic_stack 0
		.amdhsa_enable_private_segment 0
		.amdhsa_system_sgpr_workgroup_id_x 1
		.amdhsa_system_sgpr_workgroup_id_y 0
		.amdhsa_system_sgpr_workgroup_id_z 0
		.amdhsa_system_sgpr_workgroup_info 0
		.amdhsa_system_vgpr_workitem_id 0
		.amdhsa_next_free_vgpr 8
		.amdhsa_next_free_sgpr 5
		.amdhsa_named_barrier_count 0
		.amdhsa_reserve_vcc 1
		.amdhsa_float_round_mode_32 0
		.amdhsa_float_round_mode_16_64 0
		.amdhsa_float_denorm_mode_32 3
		.amdhsa_float_denorm_mode_16_64 3
		.amdhsa_fp16_overflow 0
		.amdhsa_memory_ordered 1
		.amdhsa_forward_progress 1
		.amdhsa_inst_pref_size 2
		.amdhsa_round_robin_scheduling 0
		.amdhsa_exception_fp_ieee_invalid_op 0
		.amdhsa_exception_fp_denorm_src 0
		.amdhsa_exception_fp_ieee_div_zero 0
		.amdhsa_exception_fp_ieee_overflow 0
		.amdhsa_exception_fp_ieee_underflow 0
		.amdhsa_exception_fp_ieee_inexact 0
		.amdhsa_exception_int_div_zero 0
	.end_amdhsa_kernel
	.section	.text._Z9sort_keysILj256ELj3EiN10test_utils4lessEEvPT1_T2_,"axG",@progbits,_Z9sort_keysILj256ELj3EiN10test_utils4lessEEvPT1_T2_,comdat
.Lfunc_end11:
	.size	_Z9sort_keysILj256ELj3EiN10test_utils4lessEEvPT1_T2_, .Lfunc_end11-_Z9sort_keysILj256ELj3EiN10test_utils4lessEEvPT1_T2_
                                        ; -- End function
	.set _Z9sort_keysILj256ELj3EiN10test_utils4lessEEvPT1_T2_.num_vgpr, 8
	.set _Z9sort_keysILj256ELj3EiN10test_utils4lessEEvPT1_T2_.num_agpr, 0
	.set _Z9sort_keysILj256ELj3EiN10test_utils4lessEEvPT1_T2_.numbered_sgpr, 5
	.set _Z9sort_keysILj256ELj3EiN10test_utils4lessEEvPT1_T2_.num_named_barrier, 0
	.set _Z9sort_keysILj256ELj3EiN10test_utils4lessEEvPT1_T2_.private_seg_size, 0
	.set _Z9sort_keysILj256ELj3EiN10test_utils4lessEEvPT1_T2_.uses_vcc, 1
	.set _Z9sort_keysILj256ELj3EiN10test_utils4lessEEvPT1_T2_.uses_flat_scratch, 0
	.set _Z9sort_keysILj256ELj3EiN10test_utils4lessEEvPT1_T2_.has_dyn_sized_stack, 0
	.set _Z9sort_keysILj256ELj3EiN10test_utils4lessEEvPT1_T2_.has_recursion, 0
	.set _Z9sort_keysILj256ELj3EiN10test_utils4lessEEvPT1_T2_.has_indirect_call, 0
	.section	.AMDGPU.csdata,"",@progbits
; Kernel info:
; codeLenInByte = 160
; TotalNumSgprs: 7
; NumVgprs: 8
; ScratchSize: 0
; MemoryBound: 0
; FloatMode: 240
; IeeeMode: 1
; LDSByteSize: 0 bytes/workgroup (compile time only)
; SGPRBlocks: 0
; VGPRBlocks: 0
; NumSGPRsForWavesPerEU: 7
; NumVGPRsForWavesPerEU: 8
; NamedBarCnt: 0
; Occupancy: 16
; WaveLimiterHint : 0
; COMPUTE_PGM_RSRC2:SCRATCH_EN: 0
; COMPUTE_PGM_RSRC2:USER_SGPR: 2
; COMPUTE_PGM_RSRC2:TRAP_HANDLER: 0
; COMPUTE_PGM_RSRC2:TGID_X_EN: 1
; COMPUTE_PGM_RSRC2:TGID_Y_EN: 0
; COMPUTE_PGM_RSRC2:TGID_Z_EN: 0
; COMPUTE_PGM_RSRC2:TIDIG_COMP_CNT: 0
	.section	.text._Z9sort_keysILj256ELj2EjN10test_utils4lessEEvPT1_T2_,"axG",@progbits,_Z9sort_keysILj256ELj2EjN10test_utils4lessEEvPT1_T2_,comdat
	.protected	_Z9sort_keysILj256ELj2EjN10test_utils4lessEEvPT1_T2_ ; -- Begin function _Z9sort_keysILj256ELj2EjN10test_utils4lessEEvPT1_T2_
	.globl	_Z9sort_keysILj256ELj2EjN10test_utils4lessEEvPT1_T2_
	.p2align	8
	.type	_Z9sort_keysILj256ELj2EjN10test_utils4lessEEvPT1_T2_,@function
_Z9sort_keysILj256ELj2EjN10test_utils4lessEEvPT1_T2_: ; @_Z9sort_keysILj256ELj2EjN10test_utils4lessEEvPT1_T2_
; %bb.0:
	s_load_b64 s[0:1], s[0:1], 0x0
	s_bfe_u32 s2, ttmp6, 0x4000c
	s_and_b32 s3, ttmp6, 15
	s_add_co_i32 s2, s2, 1
	s_getreg_b32 s4, hwreg(HW_REG_IB_STS2, 6, 4)
	s_mul_i32 s2, ttmp9, s2
	s_delay_alu instid0(SALU_CYCLE_1) | instskip(SKIP_4) | instid1(SALU_CYCLE_1)
	s_add_co_i32 s3, s3, s2
	s_cmp_eq_u32 s4, 0
	s_cselect_b32 s2, ttmp9, s3
	s_mov_b32 s3, 0
	s_lshl_b32 s2, s2, 9
	s_lshl_b64 s[2:3], s[2:3], 2
	s_wait_kmcnt 0x0
	s_add_nc_u64 s[0:1], s[0:1], s[2:3]
	global_load_b64 v[2:3], v0, s[0:1] scale_offset
	s_wait_loadcnt 0x0
	v_cmp_lt_u32_e32 vcc_lo, v3, v2
	v_dual_cndmask_b32 v5, v3, v2 :: v_dual_cndmask_b32 v4, v2, v3
	global_store_b64 v0, v[4:5], s[0:1] scale_offset
	s_endpgm
	.section	.rodata,"a",@progbits
	.p2align	6, 0x0
	.amdhsa_kernel _Z9sort_keysILj256ELj2EjN10test_utils4lessEEvPT1_T2_
		.amdhsa_group_segment_fixed_size 0
		.amdhsa_private_segment_fixed_size 0
		.amdhsa_kernarg_size 12
		.amdhsa_user_sgpr_count 2
		.amdhsa_user_sgpr_dispatch_ptr 0
		.amdhsa_user_sgpr_queue_ptr 0
		.amdhsa_user_sgpr_kernarg_segment_ptr 1
		.amdhsa_user_sgpr_dispatch_id 0
		.amdhsa_user_sgpr_kernarg_preload_length 0
		.amdhsa_user_sgpr_kernarg_preload_offset 0
		.amdhsa_user_sgpr_private_segment_size 0
		.amdhsa_wavefront_size32 1
		.amdhsa_uses_dynamic_stack 0
		.amdhsa_enable_private_segment 0
		.amdhsa_system_sgpr_workgroup_id_x 1
		.amdhsa_system_sgpr_workgroup_id_y 0
		.amdhsa_system_sgpr_workgroup_id_z 0
		.amdhsa_system_sgpr_workgroup_info 0
		.amdhsa_system_vgpr_workitem_id 0
		.amdhsa_next_free_vgpr 6
		.amdhsa_next_free_sgpr 5
		.amdhsa_named_barrier_count 0
		.amdhsa_reserve_vcc 1
		.amdhsa_float_round_mode_32 0
		.amdhsa_float_round_mode_16_64 0
		.amdhsa_float_denorm_mode_32 3
		.amdhsa_float_denorm_mode_16_64 3
		.amdhsa_fp16_overflow 0
		.amdhsa_memory_ordered 1
		.amdhsa_forward_progress 1
		.amdhsa_inst_pref_size 1
		.amdhsa_round_robin_scheduling 0
		.amdhsa_exception_fp_ieee_invalid_op 0
		.amdhsa_exception_fp_denorm_src 0
		.amdhsa_exception_fp_ieee_div_zero 0
		.amdhsa_exception_fp_ieee_overflow 0
		.amdhsa_exception_fp_ieee_underflow 0
		.amdhsa_exception_fp_ieee_inexact 0
		.amdhsa_exception_int_div_zero 0
	.end_amdhsa_kernel
	.section	.text._Z9sort_keysILj256ELj2EjN10test_utils4lessEEvPT1_T2_,"axG",@progbits,_Z9sort_keysILj256ELj2EjN10test_utils4lessEEvPT1_T2_,comdat
.Lfunc_end12:
	.size	_Z9sort_keysILj256ELj2EjN10test_utils4lessEEvPT1_T2_, .Lfunc_end12-_Z9sort_keysILj256ELj2EjN10test_utils4lessEEvPT1_T2_
                                        ; -- End function
	.set _Z9sort_keysILj256ELj2EjN10test_utils4lessEEvPT1_T2_.num_vgpr, 6
	.set _Z9sort_keysILj256ELj2EjN10test_utils4lessEEvPT1_T2_.num_agpr, 0
	.set _Z9sort_keysILj256ELj2EjN10test_utils4lessEEvPT1_T2_.numbered_sgpr, 5
	.set _Z9sort_keysILj256ELj2EjN10test_utils4lessEEvPT1_T2_.num_named_barrier, 0
	.set _Z9sort_keysILj256ELj2EjN10test_utils4lessEEvPT1_T2_.private_seg_size, 0
	.set _Z9sort_keysILj256ELj2EjN10test_utils4lessEEvPT1_T2_.uses_vcc, 1
	.set _Z9sort_keysILj256ELj2EjN10test_utils4lessEEvPT1_T2_.uses_flat_scratch, 0
	.set _Z9sort_keysILj256ELj2EjN10test_utils4lessEEvPT1_T2_.has_dyn_sized_stack, 0
	.set _Z9sort_keysILj256ELj2EjN10test_utils4lessEEvPT1_T2_.has_recursion, 0
	.set _Z9sort_keysILj256ELj2EjN10test_utils4lessEEvPT1_T2_.has_indirect_call, 0
	.section	.AMDGPU.csdata,"",@progbits
; Kernel info:
; codeLenInByte = 112
; TotalNumSgprs: 7
; NumVgprs: 6
; ScratchSize: 0
; MemoryBound: 0
; FloatMode: 240
; IeeeMode: 1
; LDSByteSize: 0 bytes/workgroup (compile time only)
; SGPRBlocks: 0
; VGPRBlocks: 0
; NumSGPRsForWavesPerEU: 7
; NumVGPRsForWavesPerEU: 6
; NamedBarCnt: 0
; Occupancy: 16
; WaveLimiterHint : 0
; COMPUTE_PGM_RSRC2:SCRATCH_EN: 0
; COMPUTE_PGM_RSRC2:USER_SGPR: 2
; COMPUTE_PGM_RSRC2:TRAP_HANDLER: 0
; COMPUTE_PGM_RSRC2:TGID_X_EN: 1
; COMPUTE_PGM_RSRC2:TGID_Y_EN: 0
; COMPUTE_PGM_RSRC2:TGID_Z_EN: 0
; COMPUTE_PGM_RSRC2:TIDIG_COMP_CNT: 0
	.section	.text._Z9sort_keysILj256ELj1EiN10test_utils4lessEEvPT1_T2_,"axG",@progbits,_Z9sort_keysILj256ELj1EiN10test_utils4lessEEvPT1_T2_,comdat
	.protected	_Z9sort_keysILj256ELj1EiN10test_utils4lessEEvPT1_T2_ ; -- Begin function _Z9sort_keysILj256ELj1EiN10test_utils4lessEEvPT1_T2_
	.globl	_Z9sort_keysILj256ELj1EiN10test_utils4lessEEvPT1_T2_
	.p2align	8
	.type	_Z9sort_keysILj256ELj1EiN10test_utils4lessEEvPT1_T2_,@function
_Z9sort_keysILj256ELj1EiN10test_utils4lessEEvPT1_T2_: ; @_Z9sort_keysILj256ELj1EiN10test_utils4lessEEvPT1_T2_
; %bb.0:
	s_endpgm
	.section	.rodata,"a",@progbits
	.p2align	6, 0x0
	.amdhsa_kernel _Z9sort_keysILj256ELj1EiN10test_utils4lessEEvPT1_T2_
		.amdhsa_group_segment_fixed_size 0
		.amdhsa_private_segment_fixed_size 0
		.amdhsa_kernarg_size 12
		.amdhsa_user_sgpr_count 2
		.amdhsa_user_sgpr_dispatch_ptr 0
		.amdhsa_user_sgpr_queue_ptr 0
		.amdhsa_user_sgpr_kernarg_segment_ptr 1
		.amdhsa_user_sgpr_dispatch_id 0
		.amdhsa_user_sgpr_kernarg_preload_length 0
		.amdhsa_user_sgpr_kernarg_preload_offset 0
		.amdhsa_user_sgpr_private_segment_size 0
		.amdhsa_wavefront_size32 1
		.amdhsa_uses_dynamic_stack 0
		.amdhsa_enable_private_segment 0
		.amdhsa_system_sgpr_workgroup_id_x 1
		.amdhsa_system_sgpr_workgroup_id_y 0
		.amdhsa_system_sgpr_workgroup_id_z 0
		.amdhsa_system_sgpr_workgroup_info 0
		.amdhsa_system_vgpr_workitem_id 0
		.amdhsa_next_free_vgpr 1
		.amdhsa_next_free_sgpr 1
		.amdhsa_named_barrier_count 0
		.amdhsa_reserve_vcc 0
		.amdhsa_float_round_mode_32 0
		.amdhsa_float_round_mode_16_64 0
		.amdhsa_float_denorm_mode_32 3
		.amdhsa_float_denorm_mode_16_64 3
		.amdhsa_fp16_overflow 0
		.amdhsa_memory_ordered 1
		.amdhsa_forward_progress 1
		.amdhsa_inst_pref_size 1
		.amdhsa_round_robin_scheduling 0
		.amdhsa_exception_fp_ieee_invalid_op 0
		.amdhsa_exception_fp_denorm_src 0
		.amdhsa_exception_fp_ieee_div_zero 0
		.amdhsa_exception_fp_ieee_overflow 0
		.amdhsa_exception_fp_ieee_underflow 0
		.amdhsa_exception_fp_ieee_inexact 0
		.amdhsa_exception_int_div_zero 0
	.end_amdhsa_kernel
	.section	.text._Z9sort_keysILj256ELj1EiN10test_utils4lessEEvPT1_T2_,"axG",@progbits,_Z9sort_keysILj256ELj1EiN10test_utils4lessEEvPT1_T2_,comdat
.Lfunc_end13:
	.size	_Z9sort_keysILj256ELj1EiN10test_utils4lessEEvPT1_T2_, .Lfunc_end13-_Z9sort_keysILj256ELj1EiN10test_utils4lessEEvPT1_T2_
                                        ; -- End function
	.set _Z9sort_keysILj256ELj1EiN10test_utils4lessEEvPT1_T2_.num_vgpr, 0
	.set _Z9sort_keysILj256ELj1EiN10test_utils4lessEEvPT1_T2_.num_agpr, 0
	.set _Z9sort_keysILj256ELj1EiN10test_utils4lessEEvPT1_T2_.numbered_sgpr, 0
	.set _Z9sort_keysILj256ELj1EiN10test_utils4lessEEvPT1_T2_.num_named_barrier, 0
	.set _Z9sort_keysILj256ELj1EiN10test_utils4lessEEvPT1_T2_.private_seg_size, 0
	.set _Z9sort_keysILj256ELj1EiN10test_utils4lessEEvPT1_T2_.uses_vcc, 0
	.set _Z9sort_keysILj256ELj1EiN10test_utils4lessEEvPT1_T2_.uses_flat_scratch, 0
	.set _Z9sort_keysILj256ELj1EiN10test_utils4lessEEvPT1_T2_.has_dyn_sized_stack, 0
	.set _Z9sort_keysILj256ELj1EiN10test_utils4lessEEvPT1_T2_.has_recursion, 0
	.set _Z9sort_keysILj256ELj1EiN10test_utils4lessEEvPT1_T2_.has_indirect_call, 0
	.section	.AMDGPU.csdata,"",@progbits
; Kernel info:
; codeLenInByte = 4
; TotalNumSgprs: 0
; NumVgprs: 0
; ScratchSize: 0
; MemoryBound: 0
; FloatMode: 240
; IeeeMode: 1
; LDSByteSize: 0 bytes/workgroup (compile time only)
; SGPRBlocks: 0
; VGPRBlocks: 0
; NumSGPRsForWavesPerEU: 1
; NumVGPRsForWavesPerEU: 1
; NamedBarCnt: 0
; Occupancy: 16
; WaveLimiterHint : 0
; COMPUTE_PGM_RSRC2:SCRATCH_EN: 0
; COMPUTE_PGM_RSRC2:USER_SGPR: 2
; COMPUTE_PGM_RSRC2:TRAP_HANDLER: 0
; COMPUTE_PGM_RSRC2:TGID_X_EN: 1
; COMPUTE_PGM_RSRC2:TGID_Y_EN: 0
; COMPUTE_PGM_RSRC2:TGID_Z_EN: 0
; COMPUTE_PGM_RSRC2:TIDIG_COMP_CNT: 0
	.section	.text._Z16sort_keys_valuesILj256ELj7E12hip_bfloat16iN10test_utils4lessEEvPT1_PT2_T3_,"axG",@progbits,_Z16sort_keys_valuesILj256ELj7E12hip_bfloat16iN10test_utils4lessEEvPT1_PT2_T3_,comdat
	.protected	_Z16sort_keys_valuesILj256ELj7E12hip_bfloat16iN10test_utils4lessEEvPT1_PT2_T3_ ; -- Begin function _Z16sort_keys_valuesILj256ELj7E12hip_bfloat16iN10test_utils4lessEEvPT1_PT2_T3_
	.globl	_Z16sort_keys_valuesILj256ELj7E12hip_bfloat16iN10test_utils4lessEEvPT1_PT2_T3_
	.p2align	8
	.type	_Z16sort_keys_valuesILj256ELj7E12hip_bfloat16iN10test_utils4lessEEvPT1_PT2_T3_,@function
_Z16sort_keys_valuesILj256ELj7E12hip_bfloat16iN10test_utils4lessEEvPT1_PT2_T3_: ; @_Z16sort_keys_valuesILj256ELj7E12hip_bfloat16iN10test_utils4lessEEvPT1_PT2_T3_
; %bb.0:
	s_load_b128 s[4:7], s[0:1], 0x0
	s_wait_xcnt 0x0
	s_bfe_u32 s0, ttmp6, 0x4000c
	s_and_b32 s1, ttmp6, 15
	s_add_co_i32 s0, s0, 1
	s_getreg_b32 s2, hwreg(HW_REG_IB_STS2, 6, 4)
	s_mul_i32 s0, ttmp9, s0
	v_mul_u32_u24_e32 v7, 7, v0
	s_add_co_i32 s1, s1, s0
	s_cmp_eq_u32 s2, 0
	s_cselect_b32 s0, ttmp9, s1
	s_mov_b32 s1, 0
	s_mulk_i32 s0, 0x700
	v_dual_lshlrev_b32 v11, 1, v7 :: v_dual_lshlrev_b32 v13, 2, v7
	s_lshl_b64 s[2:3], s[0:1], 1
	s_lshl_b64 s[0:1], s[0:1], 2
	s_wait_kmcnt 0x0
	s_add_nc_u64 s[2:3], s[4:5], s[2:3]
	s_add_nc_u64 s[4:5], s[6:7], s[0:1]
	s_clause 0x1
	global_load_b96 v[4:6], v11, s[2:3]
	global_load_u16 v12, v7, s[2:3] offset:12 scale_offset
	s_clause 0x1
	global_load_b128 v[0:3], v13, s[4:5]
	global_load_b96 v[8:10], v13, s[4:5] offset:16
	s_wait_loadcnt 0x3
	v_and_b32_e32 v14, 0xffff0000, v4
	v_dual_lshlrev_b32 v15, 16, v4 :: v_dual_lshrrev_b32 v16, 16, v4
	v_and_b32_e32 v17, 0xffff0000, v5
	v_dual_lshlrev_b32 v18, 16, v5 :: v_dual_lshrrev_b32 v19, 16, v5
	;; [unrolled: 2-line block ×3, first 2 shown]
	v_cmp_lt_f32_e32 vcc_lo, v14, v15
	s_delay_alu instid0(VALU_DEP_4) | instskip(SKIP_3) | instid1(VALU_DEP_3)
	v_cmp_lt_f32_e64 s0, v17, v18
	s_wait_loadcnt 0x2
	v_lshlrev_b32_e32 v23, 16, v12
	v_cmp_lt_f32_e64 s1, v20, v21
	v_dual_cndmask_b32 v14, v16, v4, vcc_lo :: v_dual_cndmask_b32 v15, v19, v5, s0
	s_delay_alu instid0(VALU_DEP_2)
	v_dual_cndmask_b32 v4, v4, v16, vcc_lo :: v_dual_cndmask_b32 v17, v22, v6, s1
	s_wait_loadcnt 0x1
	v_dual_cndmask_b32 v16, v0, v1, vcc_lo :: v_dual_cndmask_b32 v0, v1, v0, vcc_lo
	v_dual_cndmask_b32 v1, v5, v19, s0 :: v_dual_cndmask_b32 v5, v3, v2, s0
	v_cndmask_b32_e64 v2, v2, v3, s0
	s_wait_loadcnt 0x0
	v_dual_cndmask_b32 v3, v6, v22, s1 :: v_dual_cndmask_b32 v6, v9, v8, s1
	v_dual_cndmask_b32 v8, v8, v9, s1 :: v_dual_lshlrev_b32 v18, 16, v14
	v_dual_lshlrev_b32 v9, 16, v17 :: v_dual_lshlrev_b32 v19, 16, v15
	s_delay_alu instid0(VALU_DEP_3) | instskip(SKIP_1) | instid1(VALU_DEP_3)
	v_dual_lshlrev_b32 v20, 16, v1 :: v_dual_lshlrev_b32 v21, 16, v3
	v_lshlrev_b32_e32 v22, 16, v4
	v_cmp_lt_f32_e32 vcc_lo, v23, v9
	s_delay_alu instid0(VALU_DEP_3) | instskip(NEXT) | instid1(VALU_DEP_4)
	v_cmp_lt_f32_e64 s0, v20, v18
	v_cmp_lt_f32_e64 s1, v21, v19
	v_dual_cndmask_b32 v9, v12, v17 :: v_dual_cndmask_b32 v12, v17, v12
	v_cndmask_b32_e32 v17, v10, v6, vcc_lo
	s_delay_alu instid0(VALU_DEP_3) | instskip(SKIP_3) | instid1(VALU_DEP_4)
	v_dual_cndmask_b32 v18, v1, v14, s0 :: v_dual_cndmask_b32 v19, v3, v15, s1
	v_dual_cndmask_b32 v20, v2, v0, s0 :: v_dual_cndmask_b32 v0, v0, v2, s0
	;; [unrolled: 1-line block ×3, first 2 shown]
	v_dual_cndmask_b32 v3, v8, v5, s1 :: v_dual_lshlrev_b32 v14, 16, v12
	v_dual_lshlrev_b32 v15, 16, v19 :: v_dual_cndmask_b32 v5, v5, v8, s1
	v_dual_cndmask_b32 v6, v6, v10, vcc_lo :: v_dual_lshlrev_b32 v10, 16, v9
	s_delay_alu instid0(VALU_DEP_4) | instskip(NEXT) | instid1(VALU_DEP_3)
	v_dual_lshlrev_b32 v8, 16, v1 :: v_dual_lshlrev_b32 v21, 16, v18
	v_cmp_lt_f32_e32 vcc_lo, v14, v15
	v_lshlrev_b32_e32 v23, 16, v2
	s_delay_alu instid0(VALU_DEP_3) | instskip(SKIP_1) | instid1(VALU_DEP_3)
	v_cmp_lt_f32_e64 s0, v8, v22
	v_cndmask_b32_e32 v14, v12, v19, vcc_lo
	v_cmp_lt_f32_e64 s1, v23, v21
	v_dual_cndmask_b32 v12, v19, v12 :: v_dual_cndmask_b32 v19, v6, v3
	s_delay_alu instid0(VALU_DEP_4) | instskip(NEXT) | instid1(VALU_DEP_3)
	v_dual_cndmask_b32 v8, v16, v0, s0 :: v_dual_cndmask_b32 v3, v3, v6, vcc_lo
	v_dual_cndmask_b32 v0, v0, v16, s0 :: v_dual_cndmask_b32 v15, v2, v18, s1
	v_dual_lshlrev_b32 v6, 16, v14 :: v_dual_cndmask_b32 v16, v4, v1, s0
	v_dual_cndmask_b32 v1, v1, v4, s0 :: v_dual_cndmask_b32 v2, v18, v2, s1
	v_dual_cndmask_b32 v4, v5, v20, s1 :: v_dual_cndmask_b32 v5, v20, v5, s1
	s_delay_alu instid0(VALU_DEP_4) | instskip(NEXT) | instid1(VALU_DEP_4)
	v_dual_lshlrev_b32 v18, 16, v12 :: v_dual_lshlrev_b32 v20, 16, v15
	v_cmp_lt_f32_e32 vcc_lo, v10, v6
	s_delay_alu instid0(VALU_DEP_4) | instskip(NEXT) | instid1(VALU_DEP_3)
	v_lshlrev_b32_e32 v10, 16, v2
	v_cmp_lt_f32_e64 s0, v18, v20
	v_cndmask_b32_e32 v6, v14, v9, vcc_lo
	v_dual_cndmask_b32 v20, v17, v19 :: v_dual_lshlrev_b32 v21, 16, v1
	s_delay_alu instid0(VALU_DEP_3) | instskip(SKIP_1) | instid1(VALU_DEP_3)
	v_dual_cndmask_b32 v17, v19, v17, vcc_lo :: v_dual_cndmask_b32 v18, v12, v15, s0
	v_cndmask_b32_e32 v9, v9, v14, vcc_lo
	v_cmp_lt_f32_e32 vcc_lo, v10, v21
	v_dual_lshlrev_b32 v19, 16, v16 :: v_dual_lshlrev_b32 v22, 16, v6
	v_cndmask_b32_e64 v12, v15, v12, s0
	v_dual_cndmask_b32 v14, v3, v4, s0 :: v_dual_cndmask_b32 v10, v2, v1, vcc_lo
	v_dual_cndmask_b32 v3, v4, v3, s0 :: v_dual_lshlrev_b32 v4, 16, v18
	v_dual_lshlrev_b32 v15, 16, v9 :: v_dual_cndmask_b32 v21, v5, v0, vcc_lo
	s_delay_alu instid0(VALU_DEP_4) | instskip(NEXT) | instid1(VALU_DEP_4)
	v_dual_cndmask_b32 v1, v1, v2 :: v_dual_lshlrev_b32 v2, 16, v12
	v_dual_cndmask_b32 v0, v0, v5 :: v_dual_lshlrev_b32 v23, 16, v10
	s_delay_alu instid0(VALU_DEP_4) | instskip(NEXT) | instid1(VALU_DEP_3)
	v_cmp_lt_f32_e32 vcc_lo, v22, v4
	v_lshlrev_b32_e32 v5, 16, v1
	s_delay_alu instid0(VALU_DEP_3) | instskip(SKIP_2) | instid1(VALU_DEP_3)
	v_cmp_lt_f32_e64 s0, v2, v23
	v_dual_cndmask_b32 v4, v17, v14, vcc_lo :: v_dual_cndmask_b32 v14, v14, v17, vcc_lo
	v_cndmask_b32_e32 v17, v18, v6, vcc_lo
	v_cndmask_b32_e64 v2, v10, v12, s0
	v_cndmask_b32_e32 v6, v6, v18, vcc_lo
	v_cmp_lt_f32_e32 vcc_lo, v5, v19
	v_dual_cndmask_b32 v10, v12, v10, s0 :: v_dual_cndmask_b32 v5, v3, v21, s0
	s_delay_alu instid0(VALU_DEP_4) | instskip(SKIP_2) | instid1(VALU_DEP_4)
	v_dual_cndmask_b32 v3, v21, v3, s0 :: v_dual_lshlrev_b32 v19, 16, v2
	v_dual_cndmask_b32 v18, v8, v0, vcc_lo :: v_dual_lshlrev_b32 v12, 16, v17
	v_dual_cndmask_b32 v0, v0, v8 :: v_dual_lshlrev_b32 v21, 16, v6
	v_dual_cndmask_b32 v8, v1, v16, vcc_lo :: v_dual_lshlrev_b32 v22, 16, v10
	v_cndmask_b32_e32 v1, v16, v1, vcc_lo
	s_delay_alu instid0(VALU_DEP_3) | instskip(NEXT) | instid1(VALU_DEP_3)
	v_cmp_lt_f32_e32 vcc_lo, v15, v21
	v_lshlrev_b32_e32 v16, 16, v8
	s_delay_alu instid0(VALU_DEP_4) | instskip(SKIP_1) | instid1(VALU_DEP_2)
	v_cmp_lt_f32_e64 s0, v12, v22
	v_dual_cndmask_b32 v15, v9, v6, vcc_lo :: v_dual_cndmask_b32 v9, v6, v9, vcc_lo
	v_dual_cndmask_b32 v6, v20, v4, vcc_lo :: v_dual_cndmask_b32 v12, v17, v10, s0
	v_dual_cndmask_b32 v4, v4, v20, vcc_lo :: v_dual_lshlrev_b32 v20, 16, v1
	v_cmp_lt_f32_e32 vcc_lo, v19, v16
	s_delay_alu instid0(VALU_DEP_3) | instskip(SKIP_3) | instid1(VALU_DEP_2)
	v_dual_cndmask_b32 v10, v10, v17, s0 :: v_dual_lshlrev_b32 v19, 16, v12
	v_dual_cndmask_b32 v17, v14, v5, s0 :: v_dual_cndmask_b32 v14, v5, v14, s0
	v_dual_cndmask_b32 v16, v2, v8 :: v_dual_lshlrev_b32 v5, 16, v9
	v_dual_cndmask_b32 v2, v8, v2 :: v_dual_cndmask_b32 v21, v3, v0
	v_dual_lshlrev_b32 v8, 16, v10 :: v_dual_lshlrev_b32 v22, 16, v16
	s_delay_alu instid0(VALU_DEP_2) | instskip(NEXT) | instid1(VALU_DEP_4)
	v_dual_cndmask_b32 v0, v0, v3 :: v_dual_lshlrev_b32 v3, 16, v2
	v_cmp_lt_f32_e32 vcc_lo, v5, v19
	s_delay_alu instid0(VALU_DEP_3) | instskip(NEXT) | instid1(VALU_DEP_3)
	v_cmp_lt_f32_e64 s0, v8, v22
	v_cmp_lt_f32_e64 s1, v3, v20
	v_dual_cndmask_b32 v19, v9, v12, vcc_lo :: v_dual_cndmask_b32 v9, v12, v9, vcc_lo
	s_delay_alu instid0(VALU_DEP_3) | instskip(NEXT) | instid1(VALU_DEP_3)
	v_dual_cndmask_b32 v8, v10, v16, s0 :: v_dual_cndmask_b32 v5, v4, v17, vcc_lo
	v_dual_cndmask_b32 v12, v2, v1, s1 :: v_dual_cndmask_b32 v16, v16, v10, s0
	v_dual_cndmask_b32 v3, v14, v21, s0 :: v_dual_cndmask_b32 v20, v1, v2, s1
	s_delay_alu instid0(VALU_DEP_4) | instskip(SKIP_1) | instid1(VALU_DEP_4)
	v_perm_b32 v10, v19, v9, 0x5040100
	v_cndmask_b32_e64 v2, v21, v14, s0
	v_perm_b32 v9, v8, v16, 0x5040100
	v_dual_cndmask_b32 v1, v0, v18, s1 :: v_dual_cndmask_b32 v4, v17, v4, vcc_lo
	v_perm_b32 v8, v12, v20, 0x5040100
	v_cndmask_b32_e64 v0, v18, v0, s1
	s_clause 0x1
	global_store_b16 v7, v15, s[2:3] offset:12 scale_offset
	global_store_b96 v11, v[8:10], s[2:3]
	s_clause 0x1
	global_store_b128 v13, v[0:3], s[4:5]
	global_store_b96 v13, v[4:6], s[4:5] offset:16
	s_endpgm
	.section	.rodata,"a",@progbits
	.p2align	6, 0x0
	.amdhsa_kernel _Z16sort_keys_valuesILj256ELj7E12hip_bfloat16iN10test_utils4lessEEvPT1_PT2_T3_
		.amdhsa_group_segment_fixed_size 0
		.amdhsa_private_segment_fixed_size 0
		.amdhsa_kernarg_size 20
		.amdhsa_user_sgpr_count 2
		.amdhsa_user_sgpr_dispatch_ptr 0
		.amdhsa_user_sgpr_queue_ptr 0
		.amdhsa_user_sgpr_kernarg_segment_ptr 1
		.amdhsa_user_sgpr_dispatch_id 0
		.amdhsa_user_sgpr_kernarg_preload_length 0
		.amdhsa_user_sgpr_kernarg_preload_offset 0
		.amdhsa_user_sgpr_private_segment_size 0
		.amdhsa_wavefront_size32 1
		.amdhsa_uses_dynamic_stack 0
		.amdhsa_enable_private_segment 0
		.amdhsa_system_sgpr_workgroup_id_x 1
		.amdhsa_system_sgpr_workgroup_id_y 0
		.amdhsa_system_sgpr_workgroup_id_z 0
		.amdhsa_system_sgpr_workgroup_info 0
		.amdhsa_system_vgpr_workitem_id 0
		.amdhsa_next_free_vgpr 24
		.amdhsa_next_free_sgpr 8
		.amdhsa_named_barrier_count 0
		.amdhsa_reserve_vcc 1
		.amdhsa_float_round_mode_32 0
		.amdhsa_float_round_mode_16_64 0
		.amdhsa_float_denorm_mode_32 3
		.amdhsa_float_denorm_mode_16_64 3
		.amdhsa_fp16_overflow 0
		.amdhsa_memory_ordered 1
		.amdhsa_forward_progress 1
		.amdhsa_inst_pref_size 10
		.amdhsa_round_robin_scheduling 0
		.amdhsa_exception_fp_ieee_invalid_op 0
		.amdhsa_exception_fp_denorm_src 0
		.amdhsa_exception_fp_ieee_div_zero 0
		.amdhsa_exception_fp_ieee_overflow 0
		.amdhsa_exception_fp_ieee_underflow 0
		.amdhsa_exception_fp_ieee_inexact 0
		.amdhsa_exception_int_div_zero 0
	.end_amdhsa_kernel
	.section	.text._Z16sort_keys_valuesILj256ELj7E12hip_bfloat16iN10test_utils4lessEEvPT1_PT2_T3_,"axG",@progbits,_Z16sort_keys_valuesILj256ELj7E12hip_bfloat16iN10test_utils4lessEEvPT1_PT2_T3_,comdat
.Lfunc_end14:
	.size	_Z16sort_keys_valuesILj256ELj7E12hip_bfloat16iN10test_utils4lessEEvPT1_PT2_T3_, .Lfunc_end14-_Z16sort_keys_valuesILj256ELj7E12hip_bfloat16iN10test_utils4lessEEvPT1_PT2_T3_
                                        ; -- End function
	.set _Z16sort_keys_valuesILj256ELj7E12hip_bfloat16iN10test_utils4lessEEvPT1_PT2_T3_.num_vgpr, 24
	.set _Z16sort_keys_valuesILj256ELj7E12hip_bfloat16iN10test_utils4lessEEvPT1_PT2_T3_.num_agpr, 0
	.set _Z16sort_keys_valuesILj256ELj7E12hip_bfloat16iN10test_utils4lessEEvPT1_PT2_T3_.numbered_sgpr, 8
	.set _Z16sort_keys_valuesILj256ELj7E12hip_bfloat16iN10test_utils4lessEEvPT1_PT2_T3_.num_named_barrier, 0
	.set _Z16sort_keys_valuesILj256ELj7E12hip_bfloat16iN10test_utils4lessEEvPT1_PT2_T3_.private_seg_size, 0
	.set _Z16sort_keys_valuesILj256ELj7E12hip_bfloat16iN10test_utils4lessEEvPT1_PT2_T3_.uses_vcc, 1
	.set _Z16sort_keys_valuesILj256ELj7E12hip_bfloat16iN10test_utils4lessEEvPT1_PT2_T3_.uses_flat_scratch, 0
	.set _Z16sort_keys_valuesILj256ELj7E12hip_bfloat16iN10test_utils4lessEEvPT1_PT2_T3_.has_dyn_sized_stack, 0
	.set _Z16sort_keys_valuesILj256ELj7E12hip_bfloat16iN10test_utils4lessEEvPT1_PT2_T3_.has_recursion, 0
	.set _Z16sort_keys_valuesILj256ELj7E12hip_bfloat16iN10test_utils4lessEEvPT1_PT2_T3_.has_indirect_call, 0
	.section	.AMDGPU.csdata,"",@progbits
; Kernel info:
; codeLenInByte = 1204
; TotalNumSgprs: 10
; NumVgprs: 24
; ScratchSize: 0
; MemoryBound: 0
; FloatMode: 240
; IeeeMode: 1
; LDSByteSize: 0 bytes/workgroup (compile time only)
; SGPRBlocks: 0
; VGPRBlocks: 1
; NumSGPRsForWavesPerEU: 10
; NumVGPRsForWavesPerEU: 24
; NamedBarCnt: 0
; Occupancy: 16
; WaveLimiterHint : 0
; COMPUTE_PGM_RSRC2:SCRATCH_EN: 0
; COMPUTE_PGM_RSRC2:USER_SGPR: 2
; COMPUTE_PGM_RSRC2:TRAP_HANDLER: 0
; COMPUTE_PGM_RSRC2:TGID_X_EN: 1
; COMPUTE_PGM_RSRC2:TGID_Y_EN: 0
; COMPUTE_PGM_RSRC2:TGID_Z_EN: 0
; COMPUTE_PGM_RSRC2:TIDIG_COMP_CNT: 0
	.section	.text._Z16sort_keys_valuesILj256ELj6E6__halfS0_N10test_utils4lessEEvPT1_PT2_T3_,"axG",@progbits,_Z16sort_keys_valuesILj256ELj6E6__halfS0_N10test_utils4lessEEvPT1_PT2_T3_,comdat
	.protected	_Z16sort_keys_valuesILj256ELj6E6__halfS0_N10test_utils4lessEEvPT1_PT2_T3_ ; -- Begin function _Z16sort_keys_valuesILj256ELj6E6__halfS0_N10test_utils4lessEEvPT1_PT2_T3_
	.globl	_Z16sort_keys_valuesILj256ELj6E6__halfS0_N10test_utils4lessEEvPT1_PT2_T3_
	.p2align	8
	.type	_Z16sort_keys_valuesILj256ELj6E6__halfS0_N10test_utils4lessEEvPT1_PT2_T3_,@function
_Z16sort_keys_valuesILj256ELj6E6__halfS0_N10test_utils4lessEEvPT1_PT2_T3_: ; @_Z16sort_keys_valuesILj256ELj6E6__halfS0_N10test_utils4lessEEvPT1_PT2_T3_
; %bb.0:
	s_load_b128 s[0:3], s[0:1], 0x0
	s_bfe_u32 s4, ttmp6, 0x4000c
	s_and_b32 s5, ttmp6, 15
	s_add_co_i32 s4, s4, 1
	s_getreg_b32 s6, hwreg(HW_REG_IB_STS2, 6, 4)
	s_mul_i32 s4, ttmp9, s4
	v_mul_u32_u24_e32 v0, 6, v0
	s_add_co_i32 s5, s5, s4
	s_cmp_eq_u32 s6, 0
	s_cselect_b32 s4, ttmp9, s5
	s_mov_b32 s5, 0
	s_mulk_i32 s4, 0x600
	v_lshlrev_b32_e32 v8, 1, v0
	s_lshl_b64 s[4:5], s[4:5], 1
	s_wait_kmcnt 0x0
	s_add_nc_u64 s[0:1], s[0:1], s[4:5]
	s_add_nc_u64 s[2:3], s[2:3], s[4:5]
	s_clause 0x1
	global_load_b96 v[4:6], v8, s[0:1]
	global_load_b96 v[0:2], v8, s[2:3]
	s_mov_b32 s4, exec_lo
	s_wait_loadcnt 0x0
	v_lshrrev_b32_e32 v10, 16, v0
	s_delay_alu instid0(VALU_DEP_1) | instskip(NEXT) | instid1(VALU_DEP_1)
	v_dual_lshrrev_b32 v9, 16, v4 :: v_dual_mov_b32 v7, v10
	v_mov_b32_e32 v3, v9
	v_cmpx_gt_f16_e32 v4, v9
; %bb.1:
	v_dual_mov_b32 v3, v4 :: v_dual_mov_b32 v4, v9
	v_dual_mov_b32 v7, v0 :: v_dual_mov_b32 v0, v10
; %bb.2:
	s_or_b32 exec_lo, exec_lo, s4
	v_lshrrev_b32_e32 v12, 16, v1
	v_lshrrev_b32_e32 v11, 16, v5
	s_mov_b32 s4, exec_lo
	s_delay_alu instid0(VALU_DEP_1)
	v_dual_mov_b32 v10, v12 :: v_dual_mov_b32 v9, v11
	v_cmpx_gt_f16_e32 v5, v11
; %bb.3:
	v_dual_mov_b32 v9, v5 :: v_dual_mov_b32 v5, v11
	v_dual_mov_b32 v10, v1 :: v_dual_mov_b32 v1, v12
; %bb.4:
	s_or_b32 exec_lo, exec_lo, s4
	v_lshrrev_b32_e32 v13, 16, v2
	v_lshrrev_b32_e32 v12, 16, v6
	s_mov_b32 s4, exec_lo
	s_delay_alu instid0(VALU_DEP_1)
	v_dual_mov_b32 v16, v13 :: v_dual_mov_b32 v11, v12
	v_cmpx_gt_f16_e32 v6, v12
; %bb.5:
	v_dual_mov_b32 v11, v6 :: v_dual_mov_b32 v6, v12
	v_dual_mov_b32 v16, v2 :: v_dual_mov_b32 v2, v13
; %bb.6:
	s_or_b32 exec_lo, exec_lo, s4
	v_dual_mov_b32 v12, v5 :: v_dual_mov_b32 v17, v1
	s_mov_b32 s4, exec_lo
	v_cmpx_gt_f16_e32 v3, v5
	s_xor_b32 s4, exec_lo, s4
; %bb.7:
	v_dual_mov_b32 v12, v3 :: v_dual_mov_b32 v3, v5
	v_dual_mov_b32 v17, v7 :: v_dual_mov_b32 v7, v1
; %bb.8:
	s_or_b32 exec_lo, exec_lo, s4
	v_dual_mov_b32 v13, v6 :: v_dual_mov_b32 v18, v2
	s_mov_b32 s4, exec_lo
	v_cmpx_gt_f16_e32 v9, v6
; %bb.9:
	v_dual_mov_b32 v13, v9 :: v_dual_mov_b32 v9, v6
	v_dual_mov_b32 v18, v10 :: v_dual_mov_b32 v10, v2
; %bb.10:
	s_or_b32 exec_lo, exec_lo, s4
	v_dual_mov_b32 v14, v3 :: v_dual_mov_b32 v19, v7
	s_mov_b32 s4, exec_lo
	v_cmpx_gt_f16_e32 v4, v3
	;; [unrolled: 8-line block ×8, first 2 shown]
; %bb.23:
	v_dual_mov_b32 v13, v2 :: v_dual_mov_b32 v2, v15
	v_dual_mov_b32 v12, v6 :: v_dual_mov_b32 v6, v20
; %bb.24:
	s_or_b32 exec_lo, exec_lo, s4
	v_dual_mov_b32 v9, 0 :: v_dual_mov_b32 v15, v3
	v_mov_b32_e32 v14, v7
	s_mov_b32 s4, exec_lo
	v_cmpx_gt_f16_e32 v1, v3
; %bb.25:
	v_dual_mov_b32 v15, v1 :: v_dual_mov_b32 v1, v3
	v_dual_mov_b32 v14, v5 :: v_dual_mov_b32 v5, v7
; %bb.26:
	s_or_b32 exec_lo, exec_lo, s4
	v_dual_mov_b32 v17, v2 :: v_dual_mov_b32 v16, v6
	s_mov_b32 s4, exec_lo
	v_cmpx_gt_f16_e32 v11, v2
; %bb.27:
	v_dual_mov_b32 v17, v11 :: v_dual_mov_b32 v11, v2
	v_dual_mov_b32 v16, v10 :: v_dual_mov_b32 v10, v6
; %bb.28:
	s_or_b32 exec_lo, exec_lo, s4
	v_add_nc_u64_e32 v[6:7], s[0:1], v[8:9]
	v_add_nc_u64_e32 v[2:3], s[2:3], v[8:9]
	v_dual_mov_b32 v9, v1 :: v_dual_mov_b32 v8, v5
	s_mov_b32 s0, exec_lo
	v_cmpx_gt_f16_e32 v13, v1
; %bb.29:
	v_dual_mov_b32 v9, v13 :: v_dual_mov_b32 v13, v1
	v_dual_mov_b32 v8, v12 :: v_dual_mov_b32 v12, v5
; %bb.30:
	s_or_b32 exec_lo, exec_lo, s0
	s_delay_alu instid0(VALU_DEP_2) | instskip(NEXT) | instid1(VALU_DEP_3)
	v_perm_b32 v20, v15, v9, 0x5040100
	v_perm_b32 v19, v13, v17, 0x5040100
	;; [unrolled: 1-line block ×6, first 2 shown]
	global_store_b96 v[6:7], v[18:20], off
	global_store_b96 v[2:3], v[12:14], off
	s_endpgm
	.section	.rodata,"a",@progbits
	.p2align	6, 0x0
	.amdhsa_kernel _Z16sort_keys_valuesILj256ELj6E6__halfS0_N10test_utils4lessEEvPT1_PT2_T3_
		.amdhsa_group_segment_fixed_size 0
		.amdhsa_private_segment_fixed_size 0
		.amdhsa_kernarg_size 20
		.amdhsa_user_sgpr_count 2
		.amdhsa_user_sgpr_dispatch_ptr 0
		.amdhsa_user_sgpr_queue_ptr 0
		.amdhsa_user_sgpr_kernarg_segment_ptr 1
		.amdhsa_user_sgpr_dispatch_id 0
		.amdhsa_user_sgpr_kernarg_preload_length 0
		.amdhsa_user_sgpr_kernarg_preload_offset 0
		.amdhsa_user_sgpr_private_segment_size 0
		.amdhsa_wavefront_size32 1
		.amdhsa_uses_dynamic_stack 0
		.amdhsa_enable_private_segment 0
		.amdhsa_system_sgpr_workgroup_id_x 1
		.amdhsa_system_sgpr_workgroup_id_y 0
		.amdhsa_system_sgpr_workgroup_id_z 0
		.amdhsa_system_sgpr_workgroup_info 0
		.amdhsa_system_vgpr_workitem_id 0
		.amdhsa_next_free_vgpr 21
		.amdhsa_next_free_sgpr 7
		.amdhsa_named_barrier_count 0
		.amdhsa_reserve_vcc 0
		.amdhsa_float_round_mode_32 0
		.amdhsa_float_round_mode_16_64 0
		.amdhsa_float_denorm_mode_32 3
		.amdhsa_float_denorm_mode_16_64 3
		.amdhsa_fp16_overflow 0
		.amdhsa_memory_ordered 1
		.amdhsa_forward_progress 1
		.amdhsa_inst_pref_size 7
		.amdhsa_round_robin_scheduling 0
		.amdhsa_exception_fp_ieee_invalid_op 0
		.amdhsa_exception_fp_denorm_src 0
		.amdhsa_exception_fp_ieee_div_zero 0
		.amdhsa_exception_fp_ieee_overflow 0
		.amdhsa_exception_fp_ieee_underflow 0
		.amdhsa_exception_fp_ieee_inexact 0
		.amdhsa_exception_int_div_zero 0
	.end_amdhsa_kernel
	.section	.text._Z16sort_keys_valuesILj256ELj6E6__halfS0_N10test_utils4lessEEvPT1_PT2_T3_,"axG",@progbits,_Z16sort_keys_valuesILj256ELj6E6__halfS0_N10test_utils4lessEEvPT1_PT2_T3_,comdat
.Lfunc_end15:
	.size	_Z16sort_keys_valuesILj256ELj6E6__halfS0_N10test_utils4lessEEvPT1_PT2_T3_, .Lfunc_end15-_Z16sort_keys_valuesILj256ELj6E6__halfS0_N10test_utils4lessEEvPT1_PT2_T3_
                                        ; -- End function
	.set _Z16sort_keys_valuesILj256ELj6E6__halfS0_N10test_utils4lessEEvPT1_PT2_T3_.num_vgpr, 21
	.set _Z16sort_keys_valuesILj256ELj6E6__halfS0_N10test_utils4lessEEvPT1_PT2_T3_.num_agpr, 0
	.set _Z16sort_keys_valuesILj256ELj6E6__halfS0_N10test_utils4lessEEvPT1_PT2_T3_.numbered_sgpr, 7
	.set _Z16sort_keys_valuesILj256ELj6E6__halfS0_N10test_utils4lessEEvPT1_PT2_T3_.num_named_barrier, 0
	.set _Z16sort_keys_valuesILj256ELj6E6__halfS0_N10test_utils4lessEEvPT1_PT2_T3_.private_seg_size, 0
	.set _Z16sort_keys_valuesILj256ELj6E6__halfS0_N10test_utils4lessEEvPT1_PT2_T3_.uses_vcc, 0
	.set _Z16sort_keys_valuesILj256ELj6E6__halfS0_N10test_utils4lessEEvPT1_PT2_T3_.uses_flat_scratch, 0
	.set _Z16sort_keys_valuesILj256ELj6E6__halfS0_N10test_utils4lessEEvPT1_PT2_T3_.has_dyn_sized_stack, 0
	.set _Z16sort_keys_valuesILj256ELj6E6__halfS0_N10test_utils4lessEEvPT1_PT2_T3_.has_recursion, 0
	.set _Z16sort_keys_valuesILj256ELj6E6__halfS0_N10test_utils4lessEEvPT1_PT2_T3_.has_indirect_call, 0
	.section	.AMDGPU.csdata,"",@progbits
; Kernel info:
; codeLenInByte = 888
; TotalNumSgprs: 7
; NumVgprs: 21
; ScratchSize: 0
; MemoryBound: 0
; FloatMode: 240
; IeeeMode: 1
; LDSByteSize: 0 bytes/workgroup (compile time only)
; SGPRBlocks: 0
; VGPRBlocks: 1
; NumSGPRsForWavesPerEU: 7
; NumVGPRsForWavesPerEU: 21
; NamedBarCnt: 0
; Occupancy: 16
; WaveLimiterHint : 0
; COMPUTE_PGM_RSRC2:SCRATCH_EN: 0
; COMPUTE_PGM_RSRC2:USER_SGPR: 2
; COMPUTE_PGM_RSRC2:TRAP_HANDLER: 0
; COMPUTE_PGM_RSRC2:TGID_X_EN: 1
; COMPUTE_PGM_RSRC2:TGID_Y_EN: 0
; COMPUTE_PGM_RSRC2:TGID_Z_EN: 0
; COMPUTE_PGM_RSRC2:TIDIG_COMP_CNT: 0
	.section	.text._Z16sort_keys_valuesILj256ELj7E12hip_bfloat16S0_N10test_utils4lessEEvPT1_PT2_T3_,"axG",@progbits,_Z16sort_keys_valuesILj256ELj7E12hip_bfloat16S0_N10test_utils4lessEEvPT1_PT2_T3_,comdat
	.protected	_Z16sort_keys_valuesILj256ELj7E12hip_bfloat16S0_N10test_utils4lessEEvPT1_PT2_T3_ ; -- Begin function _Z16sort_keys_valuesILj256ELj7E12hip_bfloat16S0_N10test_utils4lessEEvPT1_PT2_T3_
	.globl	_Z16sort_keys_valuesILj256ELj7E12hip_bfloat16S0_N10test_utils4lessEEvPT1_PT2_T3_
	.p2align	8
	.type	_Z16sort_keys_valuesILj256ELj7E12hip_bfloat16S0_N10test_utils4lessEEvPT1_PT2_T3_,@function
_Z16sort_keys_valuesILj256ELj7E12hip_bfloat16S0_N10test_utils4lessEEvPT1_PT2_T3_: ; @_Z16sort_keys_valuesILj256ELj7E12hip_bfloat16S0_N10test_utils4lessEEvPT1_PT2_T3_
; %bb.0:
	s_load_b128 s[0:3], s[0:1], 0x0
	s_bfe_u32 s4, ttmp6, 0x4000c
	s_and_b32 s5, ttmp6, 15
	s_add_co_i32 s4, s4, 1
	s_getreg_b32 s6, hwreg(HW_REG_IB_STS2, 6, 4)
	s_mul_i32 s4, ttmp9, s4
	v_mul_u32_u24_e32 v3, 7, v0
	s_add_co_i32 s5, s5, s4
	s_cmp_eq_u32 s6, 0
	s_cselect_b32 s4, ttmp9, s5
	s_mov_b32 s5, 0
	s_mulk_i32 s4, 0x700
	v_lshlrev_b32_e32 v8, 1, v3
	s_lshl_b64 s[4:5], s[4:5], 1
	s_wait_kmcnt 0x0
	s_add_nc_u64 s[0:1], s[0:1], s[4:5]
	s_add_nc_u64 s[2:3], s[2:3], s[4:5]
	global_load_b96 v[4:6], v8, s[0:1]
	s_wait_loadcnt 0x0
	v_lshlrev_b32_e32 v7, 16, v4
	global_load_b96 v[0:2], v8, s[2:3]
	s_clause 0x1
	global_load_u16 v11, v3, s[0:1] offset:12 scale_offset
	global_load_u16 v12, v3, s[2:3] offset:12 scale_offset
	s_wait_xcnt 0x0
	v_and_b32_e32 v3, 0xffff0000, v4
	s_delay_alu instid0(VALU_DEP_1) | instskip(SKIP_2) | instid1(VALU_DEP_1)
	v_cmp_lt_f32_e32 vcc_lo, v3, v7
	s_wait_loadcnt 0x2
	v_lshrrev_b32_e32 v9, 16, v0
	v_dual_mov_b32 v7, v9 :: v_dual_lshrrev_b32 v10, 16, v4
	s_delay_alu instid0(VALU_DEP_1)
	v_mov_b32_e32 v3, v10
	s_and_saveexec_b32 s4, vcc_lo
; %bb.1:
	v_dual_mov_b32 v3, v4 :: v_dual_mov_b32 v4, v10
	v_dual_mov_b32 v7, v0 :: v_dual_mov_b32 v0, v9
; %bb.2:
	s_or_b32 exec_lo, exec_lo, s4
	v_and_b32_e32 v9, 0xffff0000, v5
	v_dual_lshlrev_b32 v10, 16, v5 :: v_dual_lshrrev_b32 v14, 16, v5
	v_lshrrev_b32_e32 v13, 16, v1
	s_delay_alu instid0(VALU_DEP_2) | instskip(NEXT) | instid1(VALU_DEP_2)
	v_cmp_lt_f32_e32 vcc_lo, v9, v10
	v_dual_mov_b32 v9, v14 :: v_dual_mov_b32 v10, v13
	s_and_saveexec_b32 s4, vcc_lo
; %bb.3:
	v_dual_mov_b32 v9, v5 :: v_dual_mov_b32 v5, v14
	v_dual_mov_b32 v10, v1 :: v_dual_mov_b32 v1, v13
; %bb.4:
	s_or_b32 exec_lo, exec_lo, s4
	v_and_b32_e32 v14, 0xffff0000, v6
	v_dual_lshlrev_b32 v15, 16, v6 :: v_dual_lshrrev_b32 v16, 16, v6
	v_lshrrev_b32_e32 v13, 16, v2
	s_delay_alu instid0(VALU_DEP_2) | instskip(NEXT) | instid1(VALU_DEP_2)
	v_cmp_lt_f32_e32 vcc_lo, v14, v15
	v_dual_mov_b32 v14, v16 :: v_dual_mov_b32 v15, v13
	s_and_saveexec_b32 s4, vcc_lo
; %bb.5:
	v_dual_mov_b32 v14, v6 :: v_dual_mov_b32 v6, v16
	v_dual_mov_b32 v15, v2 :: v_dual_mov_b32 v2, v13
; %bb.6:
	s_or_b32 exec_lo, exec_lo, s4
	v_dual_lshlrev_b32 v16, 16, v3 :: v_dual_lshlrev_b32 v17, 16, v5
	v_mov_b32_e32 v13, v5
	s_delay_alu instid0(VALU_DEP_2) | instskip(SKIP_2) | instid1(SALU_CYCLE_1)
	v_cmp_lt_f32_e32 vcc_lo, v17, v16
	v_mov_b32_e32 v16, v1
	s_and_saveexec_b32 s4, vcc_lo
	s_xor_b32 s4, exec_lo, s4
; %bb.7:
	v_dual_mov_b32 v13, v3 :: v_dual_mov_b32 v3, v5
	v_dual_mov_b32 v16, v7 :: v_dual_mov_b32 v7, v1
; %bb.8:
	s_or_b32 exec_lo, exec_lo, s4
	v_dual_lshlrev_b32 v5, 16, v9 :: v_dual_lshlrev_b32 v17, 16, v6
	v_mov_b32_e32 v1, v6
	s_delay_alu instid0(VALU_DEP_2)
	v_cmp_lt_f32_e32 vcc_lo, v17, v5
	v_mov_b32_e32 v17, v2
	s_and_saveexec_b32 s4, vcc_lo
; %bb.9:
	v_dual_mov_b32 v1, v9 :: v_dual_mov_b32 v9, v6
	v_dual_mov_b32 v17, v10 :: v_dual_mov_b32 v10, v2
; %bb.10:
	s_or_b32 exec_lo, exec_lo, s4
	s_wait_loadcnt 0x1
	v_dual_lshlrev_b32 v5, 16, v14 :: v_dual_lshlrev_b32 v6, 16, v11
	s_wait_loadcnt 0x0
	v_dual_mov_b32 v2, v11 :: v_dual_mov_b32 v18, v12
	s_mov_b32 s4, exec_lo
	s_delay_alu instid0(VALU_DEP_2)
	v_cmpx_lt_f32_e32 v6, v5
; %bb.11:
	v_dual_mov_b32 v2, v14 :: v_dual_mov_b32 v14, v11
	v_dual_mov_b32 v18, v15 :: v_dual_mov_b32 v15, v12
; %bb.12:
	s_or_b32 exec_lo, exec_lo, s4
	v_dual_lshlrev_b32 v6, 16, v4 :: v_dual_lshlrev_b32 v11, 16, v3
	v_dual_mov_b32 v5, v3 :: v_dual_mov_b32 v19, v7
	s_mov_b32 s4, exec_lo
	s_delay_alu instid0(VALU_DEP_2)
	v_cmpx_lt_f32_e32 v11, v6
; %bb.13:
	v_dual_mov_b32 v5, v4 :: v_dual_mov_b32 v4, v3
	v_dual_mov_b32 v19, v0 :: v_dual_mov_b32 v0, v7
; %bb.14:
	s_or_b32 exec_lo, exec_lo, s4
	v_dual_lshlrev_b32 v3, 16, v13 :: v_dual_mov_b32 v11, v9
	v_dual_lshlrev_b32 v6, 16, v9 :: v_dual_mov_b32 v20, v10
	s_mov_b32 s4, exec_lo
	s_delay_alu instid0(VALU_DEP_1)
	v_cmpx_lt_f32_e32 v6, v3
; %bb.15:
	v_dual_mov_b32 v11, v13 :: v_dual_mov_b32 v13, v9
	v_dual_mov_b32 v20, v16 :: v_dual_mov_b32 v16, v10
; %bb.16:
	s_or_b32 exec_lo, exec_lo, s4
	v_dual_lshlrev_b32 v3, 16, v1 :: v_dual_lshlrev_b32 v6, 16, v14
	v_dual_mov_b32 v9, v14 :: v_dual_mov_b32 v21, v15
	s_mov_b32 s4, exec_lo
	s_delay_alu instid0(VALU_DEP_2)
	v_cmpx_lt_f32_e32 v6, v3
; %bb.17:
	v_dual_mov_b32 v9, v1 :: v_dual_mov_b32 v1, v14
	v_dual_mov_b32 v21, v17 :: v_dual_mov_b32 v17, v15
; %bb.18:
	s_or_b32 exec_lo, exec_lo, s4
	v_dual_mov_b32 v10, v13 :: v_dual_lshlrev_b32 v3, 16, v5
	v_dual_mov_b32 v15, v16 :: v_dual_lshlrev_b32 v6, 16, v13
	s_mov_b32 s4, exec_lo
	s_delay_alu instid0(VALU_DEP_1)
	v_cmpx_lt_f32_e32 v6, v3
; %bb.19:
	v_dual_mov_b32 v10, v5 :: v_dual_mov_b32 v5, v13
	v_dual_mov_b32 v15, v19 :: v_dual_mov_b32 v19, v16
; %bb.20:
	s_or_b32 exec_lo, exec_lo, s4
	v_dual_lshlrev_b32 v3, 16, v11 :: v_dual_lshlrev_b32 v6, 16, v1
	v_dual_mov_b32 v12, v1 :: v_dual_mov_b32 v16, v17
	s_mov_b32 s4, exec_lo
	s_delay_alu instid0(VALU_DEP_2)
	v_cmpx_lt_f32_e32 v6, v3
; %bb.21:
	v_dual_mov_b32 v12, v11 :: v_dual_mov_b32 v11, v1
	v_dual_mov_b32 v16, v20 :: v_dual_mov_b32 v20, v17
; %bb.22:
	s_or_b32 exec_lo, exec_lo, s4
	v_dual_lshlrev_b32 v1, 16, v9 :: v_dual_lshlrev_b32 v3, 16, v2
	v_dual_mov_b32 v6, v2 :: v_dual_mov_b32 v14, v18
	s_mov_b32 s4, exec_lo
	s_delay_alu instid0(VALU_DEP_2)
	;; [unrolled: 10-line block ×4, first 2 shown]
	v_cmpx_lt_f32_e32 v5, v1
; %bb.27:
	v_dual_mov_b32 v2, v10 :: v_dual_mov_b32 v10, v11
	v_dual_mov_b32 v7, v15 :: v_dual_mov_b32 v15, v20
; %bb.28:
	s_or_b32 exec_lo, exec_lo, s4
	v_dual_lshlrev_b32 v5, 16, v12 :: v_dual_lshlrev_b32 v11, 16, v9
	v_mov_b32_e32 v1, v9
	s_delay_alu instid0(VALU_DEP_2)
	v_cmp_lt_f32_e32 vcc_lo, v11, v5
	v_mov_b32_e32 v5, v21
	s_and_saveexec_b32 s4, vcc_lo
; %bb.29:
	v_dual_mov_b32 v1, v12 :: v_dual_mov_b32 v12, v9
	v_dual_mov_b32 v5, v16 :: v_dual_mov_b32 v16, v21
; %bb.30:
	s_or_b32 exec_lo, exec_lo, s4
	v_dual_lshlrev_b32 v9, 16, v3 :: v_dual_lshlrev_b32 v11, 16, v10
	v_mov_b32_e32 v17, v10
	s_delay_alu instid0(VALU_DEP_2)
	v_cmp_lt_f32_e32 vcc_lo, v11, v9
	v_mov_b32_e32 v11, v15
	s_and_saveexec_b32 s4, vcc_lo
	;; [unrolled: 11-line block ×4, first 2 shown]
; %bb.35:
	v_dual_mov_b32 v12, v1 :: v_dual_mov_b32 v1, v6
	v_dual_mov_b32 v16, v5 :: v_dual_mov_b32 v5, v14
; %bb.36:
	s_or_b32 exec_lo, exec_lo, s4
	v_dual_lshlrev_b32 v6, 16, v4 :: v_dual_lshlrev_b32 v14, 16, v3
	v_dual_mov_b32 v9, 0 :: v_dual_mov_b32 v18, v3
	s_delay_alu instid0(VALU_DEP_2)
	v_cmp_lt_f32_e32 vcc_lo, v14, v6
	v_mov_b32_e32 v14, v13
	s_and_saveexec_b32 s4, vcc_lo
; %bb.37:
	v_dual_mov_b32 v18, v4 :: v_dual_mov_b32 v4, v3
	v_dual_mov_b32 v14, v0 :: v_dual_mov_b32 v0, v13
; %bb.38:
	s_or_b32 exec_lo, exec_lo, s4
	v_dual_lshlrev_b32 v3, 16, v17 :: v_dual_lshlrev_b32 v6, 16, v2
	v_dual_mov_b32 v19, v2 :: v_dual_mov_b32 v13, v7
	s_mov_b32 s4, exec_lo
	s_delay_alu instid0(VALU_DEP_2)
	v_cmpx_lt_f32_e32 v6, v3
; %bb.39:
	v_dual_mov_b32 v19, v17 :: v_dual_mov_b32 v17, v2
	v_dual_mov_b32 v13, v11 :: v_dual_mov_b32 v11, v7
; %bb.40:
	s_or_b32 exec_lo, exec_lo, s4
	v_add_nc_u64_e32 v[6:7], s[0:1], v[8:9]
	v_add_nc_u64_e32 v[2:3], s[2:3], v[8:9]
	v_dual_lshlrev_b32 v20, 16, v15 :: v_dual_lshlrev_b32 v21, 16, v1
	v_dual_mov_b32 v9, v1 :: v_dual_mov_b32 v8, v5
	s_mov_b32 s0, exec_lo
	s_delay_alu instid0(VALU_DEP_2)
	v_cmpx_lt_f32_e32 v21, v20
; %bb.41:
	v_dual_mov_b32 v9, v15 :: v_dual_mov_b32 v15, v1
	v_dual_mov_b32 v8, v10 :: v_dual_mov_b32 v10, v5
; %bb.42:
	s_or_b32 exec_lo, exec_lo, s0
	v_perm_b32 v19, v19, v17, 0x5040100
	v_perm_b32 v18, v18, v4, 0x5040100
	;; [unrolled: 1-line block ×6, first 2 shown]
	s_clause 0x1
	global_store_b16 v[6:7], v12, off offset:12
	global_store_b96 v[6:7], v[18:20], off
	s_clause 0x1
	global_store_b16 v[2:3], v16, off offset:12
	global_store_b96 v[2:3], v[22:24], off
	s_endpgm
	.section	.rodata,"a",@progbits
	.p2align	6, 0x0
	.amdhsa_kernel _Z16sort_keys_valuesILj256ELj7E12hip_bfloat16S0_N10test_utils4lessEEvPT1_PT2_T3_
		.amdhsa_group_segment_fixed_size 0
		.amdhsa_private_segment_fixed_size 0
		.amdhsa_kernarg_size 20
		.amdhsa_user_sgpr_count 2
		.amdhsa_user_sgpr_dispatch_ptr 0
		.amdhsa_user_sgpr_queue_ptr 0
		.amdhsa_user_sgpr_kernarg_segment_ptr 1
		.amdhsa_user_sgpr_dispatch_id 0
		.amdhsa_user_sgpr_kernarg_preload_length 0
		.amdhsa_user_sgpr_kernarg_preload_offset 0
		.amdhsa_user_sgpr_private_segment_size 0
		.amdhsa_wavefront_size32 1
		.amdhsa_uses_dynamic_stack 0
		.amdhsa_enable_private_segment 0
		.amdhsa_system_sgpr_workgroup_id_x 1
		.amdhsa_system_sgpr_workgroup_id_y 0
		.amdhsa_system_sgpr_workgroup_id_z 0
		.amdhsa_system_sgpr_workgroup_info 0
		.amdhsa_system_vgpr_workitem_id 0
		.amdhsa_next_free_vgpr 25
		.amdhsa_next_free_sgpr 7
		.amdhsa_named_barrier_count 0
		.amdhsa_reserve_vcc 1
		.amdhsa_float_round_mode_32 0
		.amdhsa_float_round_mode_16_64 0
		.amdhsa_float_denorm_mode_32 3
		.amdhsa_float_denorm_mode_16_64 3
		.amdhsa_fp16_overflow 0
		.amdhsa_memory_ordered 1
		.amdhsa_forward_progress 1
		.amdhsa_inst_pref_size 12
		.amdhsa_round_robin_scheduling 0
		.amdhsa_exception_fp_ieee_invalid_op 0
		.amdhsa_exception_fp_denorm_src 0
		.amdhsa_exception_fp_ieee_div_zero 0
		.amdhsa_exception_fp_ieee_overflow 0
		.amdhsa_exception_fp_ieee_underflow 0
		.amdhsa_exception_fp_ieee_inexact 0
		.amdhsa_exception_int_div_zero 0
	.end_amdhsa_kernel
	.section	.text._Z16sort_keys_valuesILj256ELj7E12hip_bfloat16S0_N10test_utils4lessEEvPT1_PT2_T3_,"axG",@progbits,_Z16sort_keys_valuesILj256ELj7E12hip_bfloat16S0_N10test_utils4lessEEvPT1_PT2_T3_,comdat
.Lfunc_end16:
	.size	_Z16sort_keys_valuesILj256ELj7E12hip_bfloat16S0_N10test_utils4lessEEvPT1_PT2_T3_, .Lfunc_end16-_Z16sort_keys_valuesILj256ELj7E12hip_bfloat16S0_N10test_utils4lessEEvPT1_PT2_T3_
                                        ; -- End function
	.set _Z16sort_keys_valuesILj256ELj7E12hip_bfloat16S0_N10test_utils4lessEEvPT1_PT2_T3_.num_vgpr, 25
	.set _Z16sort_keys_valuesILj256ELj7E12hip_bfloat16S0_N10test_utils4lessEEvPT1_PT2_T3_.num_agpr, 0
	.set _Z16sort_keys_valuesILj256ELj7E12hip_bfloat16S0_N10test_utils4lessEEvPT1_PT2_T3_.numbered_sgpr, 7
	.set _Z16sort_keys_valuesILj256ELj7E12hip_bfloat16S0_N10test_utils4lessEEvPT1_PT2_T3_.num_named_barrier, 0
	.set _Z16sort_keys_valuesILj256ELj7E12hip_bfloat16S0_N10test_utils4lessEEvPT1_PT2_T3_.private_seg_size, 0
	.set _Z16sort_keys_valuesILj256ELj7E12hip_bfloat16S0_N10test_utils4lessEEvPT1_PT2_T3_.uses_vcc, 1
	.set _Z16sort_keys_valuesILj256ELj7E12hip_bfloat16S0_N10test_utils4lessEEvPT1_PT2_T3_.uses_flat_scratch, 0
	.set _Z16sort_keys_valuesILj256ELj7E12hip_bfloat16S0_N10test_utils4lessEEvPT1_PT2_T3_.has_dyn_sized_stack, 0
	.set _Z16sort_keys_valuesILj256ELj7E12hip_bfloat16S0_N10test_utils4lessEEvPT1_PT2_T3_.has_recursion, 0
	.set _Z16sort_keys_valuesILj256ELj7E12hip_bfloat16S0_N10test_utils4lessEEvPT1_PT2_T3_.has_indirect_call, 0
	.section	.AMDGPU.csdata,"",@progbits
; Kernel info:
; codeLenInByte = 1536
; TotalNumSgprs: 9
; NumVgprs: 25
; ScratchSize: 0
; MemoryBound: 0
; FloatMode: 240
; IeeeMode: 1
; LDSByteSize: 0 bytes/workgroup (compile time only)
; SGPRBlocks: 0
; VGPRBlocks: 1
; NumSGPRsForWavesPerEU: 9
; NumVGPRsForWavesPerEU: 25
; NamedBarCnt: 0
; Occupancy: 16
; WaveLimiterHint : 0
; COMPUTE_PGM_RSRC2:SCRATCH_EN: 0
; COMPUTE_PGM_RSRC2:USER_SGPR: 2
; COMPUTE_PGM_RSRC2:TRAP_HANDLER: 0
; COMPUTE_PGM_RSRC2:TGID_X_EN: 1
; COMPUTE_PGM_RSRC2:TGID_Y_EN: 0
; COMPUTE_PGM_RSRC2:TGID_Z_EN: 0
; COMPUTE_PGM_RSRC2:TIDIG_COMP_CNT: 0
	.section	.text._Z16sort_keys_valuesILj256ELj4EN10test_utils16custom_test_typeIiEENS1_IcEENS0_4lessEEvPT1_PT2_T3_,"axG",@progbits,_Z16sort_keys_valuesILj256ELj4EN10test_utils16custom_test_typeIiEENS1_IcEENS0_4lessEEvPT1_PT2_T3_,comdat
	.protected	_Z16sort_keys_valuesILj256ELj4EN10test_utils16custom_test_typeIiEENS1_IcEENS0_4lessEEvPT1_PT2_T3_ ; -- Begin function _Z16sort_keys_valuesILj256ELj4EN10test_utils16custom_test_typeIiEENS1_IcEENS0_4lessEEvPT1_PT2_T3_
	.globl	_Z16sort_keys_valuesILj256ELj4EN10test_utils16custom_test_typeIiEENS1_IcEENS0_4lessEEvPT1_PT2_T3_
	.p2align	8
	.type	_Z16sort_keys_valuesILj256ELj4EN10test_utils16custom_test_typeIiEENS1_IcEENS0_4lessEEvPT1_PT2_T3_,@function
_Z16sort_keys_valuesILj256ELj4EN10test_utils16custom_test_typeIiEENS1_IcEENS0_4lessEEvPT1_PT2_T3_: ; @_Z16sort_keys_valuesILj256ELj4EN10test_utils16custom_test_typeIiEENS1_IcEENS0_4lessEEvPT1_PT2_T3_
; %bb.0:
	s_load_b128 s[0:3], s[0:1], 0x0
	s_bfe_u32 s4, ttmp6, 0x4000c
	s_and_b32 s5, ttmp6, 15
	s_add_co_i32 s4, s4, 1
	s_getreg_b32 s6, hwreg(HW_REG_IB_STS2, 6, 4)
	s_mul_i32 s4, ttmp9, s4
	v_dual_mov_b32 v13, 0 :: v_dual_lshlrev_b32 v12, 5, v0
	s_add_co_i32 s5, s5, s4
	s_cmp_eq_u32 s6, 0
	s_cselect_b32 s4, ttmp9, s5
	s_mov_b32 s5, 0
	s_lshl_b32 s4, s4, 10
	s_delay_alu instid0(SALU_CYCLE_1)
	s_lshl_b64 s[6:7], s[4:5], 1
	s_lshl_b64 s[4:5], s[4:5], 3
	s_wait_kmcnt 0x0
	s_add_nc_u64 s[2:3], s[2:3], s[6:7]
	s_add_nc_u64 s[4:5], s[0:1], s[4:5]
	global_load_b64 v[10:11], v0, s[2:3] scale_offset
	s_clause 0x1
	global_load_b128 v[2:5], v12, s[4:5]
	global_load_b128 v[6:9], v12, s[4:5] offset:16
	s_wait_loadcnt 0x2
	v_dual_lshrrev_b32 v14, 16, v10 :: v_dual_lshrrev_b32 v15, 24, v10
	s_wait_loadcnt 0x1
	v_cmp_eq_u32_e32 vcc_lo, v4, v2
	v_cmp_lt_i32_e64 s0, v5, v3
	v_cmp_lt_i32_e64 s1, v4, v2
	v_dual_mov_b32 v1, v14 :: v_dual_lshrrev_b32 v18, 8, v10
	v_mov_b32_e32 v19, v15
	s_and_b32 s0, vcc_lo, s0
	s_delay_alu instid0(SALU_CYCLE_1)
	s_or_b32 s1, s1, s0
	s_wait_xcnt 0x0
	s_and_saveexec_b32 s0, s1
; %bb.1:
	v_mov_b64_e32 v[16:17], v[2:3]
	v_mov_b64_e32 v[2:3], v[4:5]
	v_dual_mov_b32 v1, v10 :: v_dual_mov_b32 v19, v18
	v_dual_mov_b32 v10, v14 :: v_dual_mov_b32 v18, v15
	s_delay_alu instid0(VALU_DEP_4)
	v_mov_b64_e32 v[4:5], v[16:17]
; %bb.2:
	s_or_b32 exec_lo, exec_lo, s0
	v_dual_lshrrev_b32 v25, 8, v11 :: v_dual_lshrrev_b32 v22, 16, v11
	s_wait_loadcnt 0x0
	v_dual_mov_b32 v26, v7 :: v_dual_lshrrev_b32 v23, 24, v11
	v_cmp_eq_u32_e64 s0, v8, v6
	v_cmp_lt_i32_e64 s1, v9, v7
	v_cmp_lt_i32_e32 vcc_lo, v8, v6
	v_mov_b64_e32 v[14:15], v[8:9]
	v_mov_b64_e32 v[16:17], v[6:7]
	v_dual_mov_b32 v24, v6 :: v_dual_mov_b32 v20, v22
	v_mov_b32_e32 v21, v23
	s_and_b32 s0, s0, s1
	s_delay_alu instid0(SALU_CYCLE_1) | instskip(NEXT) | instid1(SALU_CYCLE_1)
	s_or_b32 s1, vcc_lo, s0
	s_and_saveexec_b32 s0, s1
	s_cbranch_execz .LBB17_4
; %bb.3:
	v_mov_b64_e32 v[14:15], v[6:7]
	v_mov_b64_e32 v[6:7], v[8:9]
	v_mov_b64_e32 v[16:17], v[8:9]
	v_dual_mov_b32 v26, v9 :: v_dual_mov_b32 v24, v8
	v_dual_mov_b32 v20, v11 :: v_dual_mov_b32 v21, v25
	;; [unrolled: 1-line block ×3, first 2 shown]
.LBB17_4:
	s_or_b32 exec_lo, exec_lo, s0
	s_delay_alu instid0(VALU_DEP_3) | instskip(SKIP_3) | instid1(SALU_CYCLE_1)
	v_cmp_ne_u32_e32 vcc_lo, v24, v4
	v_cmp_ge_i32_e64 s0, v26, v5
	v_cmp_ge_i32_e64 s1, v24, v4
	s_or_b32 s0, vcc_lo, s0
	s_and_b32 s0, s1, s0
	s_delay_alu instid0(SALU_CYCLE_1) | instskip(NEXT) | instid1(SALU_CYCLE_1)
	s_and_saveexec_b32 s1, s0
	s_xor_b32 s0, exec_lo, s1
; %bb.5:
	v_mov_b64_e32 v[16:17], v[4:5]
	v_dual_mov_b32 v24, v4 :: v_dual_mov_b32 v26, v5
; %bb.6:
	s_or_saveexec_b32 s0, s0
	v_dual_mov_b32 v22, v11 :: v_dual_mov_b32 v23, v25
	s_xor_b32 exec_lo, exec_lo, s0
; %bb.7:
	v_mov_b64_e32 v[6:7], v[4:5]
	s_delay_alu instid0(VALU_DEP_4)
	v_mov_b64_e32 v[4:5], v[16:17]
	v_dual_mov_b32 v22, v1 :: v_dual_mov_b32 v23, v19
	v_dual_mov_b32 v1, v11 :: v_dual_mov_b32 v19, v25
; %bb.8:
	s_or_b32 exec_lo, exec_lo, s0
	v_cmp_eq_u32_e32 vcc_lo, v24, v2
	v_cmp_lt_i32_e64 s0, v26, v3
	v_cmp_lt_i32_e64 s1, v24, v2
	v_dual_mov_b32 v11, v1 :: v_dual_lshlrev_b32 v0, 3, v0
	v_mov_b32_e32 v24, v19
	s_and_b32 s0, vcc_lo, s0
	s_delay_alu instid0(SALU_CYCLE_1) | instskip(NEXT) | instid1(SALU_CYCLE_1)
	s_or_b32 s1, s1, s0
	s_and_saveexec_b32 s0, s1
; %bb.9:
	v_mov_b64_e32 v[4:5], v[2:3]
	v_mov_b64_e32 v[2:3], v[16:17]
	v_dual_mov_b32 v11, v10 :: v_dual_mov_b32 v24, v18
	v_dual_mov_b32 v10, v1 :: v_dual_mov_b32 v18, v19
; %bb.10:
	s_or_b32 exec_lo, exec_lo, s0
	v_cmp_eq_u32_e32 vcc_lo, v14, v6
	v_cmp_lt_i32_e64 s0, v15, v7
	v_cmp_lt_i32_e64 s1, v14, v6
	v_mov_b64_e32 v[8:9], v[14:15]
	v_dual_mov_b32 v1, v13 :: v_dual_mov_b32 v16, v20
	v_mov_b32_e32 v17, v21
	s_and_b32 s0, vcc_lo, s0
	s_delay_alu instid0(SALU_CYCLE_1) | instskip(NEXT) | instid1(SALU_CYCLE_1)
	s_or_b32 s1, s1, s0
	s_and_saveexec_b32 s0, s1
; %bb.11:
	v_mov_b64_e32 v[8:9], v[6:7]
	v_mov_b64_e32 v[6:7], v[14:15]
	v_dual_mov_b32 v16, v22 :: v_dual_mov_b32 v17, v23
	v_dual_mov_b32 v22, v20 :: v_dual_mov_b32 v23, v21
; %bb.12:
	s_or_b32 exec_lo, exec_lo, s0
	s_delay_alu instid0(VALU_DEP_3) | instskip(NEXT) | instid1(VALU_DEP_4)
	v_cmp_ne_u32_e32 vcc_lo, v6, v4
	v_cmp_ge_i32_e64 s0, v7, v5
	v_add_nc_u64_e32 v[14:15], s[4:5], v[12:13]
	v_add_nc_u64_e32 v[0:1], s[2:3], v[0:1]
	v_cmp_ge_i32_e64 s1, v6, v4
	v_mov_b64_e32 v[12:13], v[6:7]
	v_dual_mov_b32 v19, v11 :: v_dual_mov_b32 v20, v24
	s_or_b32 s0, vcc_lo, s0
	s_delay_alu instid0(SALU_CYCLE_1) | instskip(NEXT) | instid1(SALU_CYCLE_1)
	s_and_b32 s1, s1, s0
	s_and_saveexec_b32 s0, s1
; %bb.13:
	v_mov_b64_e32 v[12:13], v[4:5]
	v_mov_b64_e32 v[4:5], v[6:7]
	v_dual_mov_b32 v19, v22 :: v_dual_mov_b32 v20, v23
	v_dual_mov_b32 v22, v11 :: v_dual_mov_b32 v23, v24
; %bb.14:
	s_or_b32 exec_lo, exec_lo, s0
	s_delay_alu instid0(VALU_DEP_2)
	v_perm_b32 v19, v19, v20, 0xc0c0004
	v_perm_b32 v16, v16, v17, 0xc0c0004
	v_perm_b32 v17, v10, v18, 0xc0c0004
	v_perm_b32 v18, v22, v23, 0xc0c0004
	v_mov_b64_e32 v[6:7], v[4:5]
	v_dual_mov_b32 v10, v2 :: v_dual_mov_b32 v11, v3
	v_lshl_or_b32 v3, v16, 16, v19
	s_delay_alu instid0(VALU_DEP_4)
	v_lshl_or_b32 v2, v18, 16, v17
	s_clause 0x1
	global_store_b128 v[14:15], v[10:13], off
	global_store_b128 v[14:15], v[6:9], off offset:16
	global_store_b64 v[0:1], v[2:3], off
	s_endpgm
	.section	.rodata,"a",@progbits
	.p2align	6, 0x0
	.amdhsa_kernel _Z16sort_keys_valuesILj256ELj4EN10test_utils16custom_test_typeIiEENS1_IcEENS0_4lessEEvPT1_PT2_T3_
		.amdhsa_group_segment_fixed_size 0
		.amdhsa_private_segment_fixed_size 0
		.amdhsa_kernarg_size 20
		.amdhsa_user_sgpr_count 2
		.amdhsa_user_sgpr_dispatch_ptr 0
		.amdhsa_user_sgpr_queue_ptr 0
		.amdhsa_user_sgpr_kernarg_segment_ptr 1
		.amdhsa_user_sgpr_dispatch_id 0
		.amdhsa_user_sgpr_kernarg_preload_length 0
		.amdhsa_user_sgpr_kernarg_preload_offset 0
		.amdhsa_user_sgpr_private_segment_size 0
		.amdhsa_wavefront_size32 1
		.amdhsa_uses_dynamic_stack 0
		.amdhsa_enable_private_segment 0
		.amdhsa_system_sgpr_workgroup_id_x 1
		.amdhsa_system_sgpr_workgroup_id_y 0
		.amdhsa_system_sgpr_workgroup_id_z 0
		.amdhsa_system_sgpr_workgroup_info 0
		.amdhsa_system_vgpr_workitem_id 0
		.amdhsa_next_free_vgpr 27
		.amdhsa_next_free_sgpr 8
		.amdhsa_named_barrier_count 0
		.amdhsa_reserve_vcc 1
		.amdhsa_float_round_mode_32 0
		.amdhsa_float_round_mode_16_64 0
		.amdhsa_float_denorm_mode_32 3
		.amdhsa_float_denorm_mode_16_64 3
		.amdhsa_fp16_overflow 0
		.amdhsa_memory_ordered 1
		.amdhsa_forward_progress 1
		.amdhsa_inst_pref_size 7
		.amdhsa_round_robin_scheduling 0
		.amdhsa_exception_fp_ieee_invalid_op 0
		.amdhsa_exception_fp_denorm_src 0
		.amdhsa_exception_fp_ieee_div_zero 0
		.amdhsa_exception_fp_ieee_overflow 0
		.amdhsa_exception_fp_ieee_underflow 0
		.amdhsa_exception_fp_ieee_inexact 0
		.amdhsa_exception_int_div_zero 0
	.end_amdhsa_kernel
	.section	.text._Z16sort_keys_valuesILj256ELj4EN10test_utils16custom_test_typeIiEENS1_IcEENS0_4lessEEvPT1_PT2_T3_,"axG",@progbits,_Z16sort_keys_valuesILj256ELj4EN10test_utils16custom_test_typeIiEENS1_IcEENS0_4lessEEvPT1_PT2_T3_,comdat
.Lfunc_end17:
	.size	_Z16sort_keys_valuesILj256ELj4EN10test_utils16custom_test_typeIiEENS1_IcEENS0_4lessEEvPT1_PT2_T3_, .Lfunc_end17-_Z16sort_keys_valuesILj256ELj4EN10test_utils16custom_test_typeIiEENS1_IcEENS0_4lessEEvPT1_PT2_T3_
                                        ; -- End function
	.set _Z16sort_keys_valuesILj256ELj4EN10test_utils16custom_test_typeIiEENS1_IcEENS0_4lessEEvPT1_PT2_T3_.num_vgpr, 27
	.set _Z16sort_keys_valuesILj256ELj4EN10test_utils16custom_test_typeIiEENS1_IcEENS0_4lessEEvPT1_PT2_T3_.num_agpr, 0
	.set _Z16sort_keys_valuesILj256ELj4EN10test_utils16custom_test_typeIiEENS1_IcEENS0_4lessEEvPT1_PT2_T3_.numbered_sgpr, 8
	.set _Z16sort_keys_valuesILj256ELj4EN10test_utils16custom_test_typeIiEENS1_IcEENS0_4lessEEvPT1_PT2_T3_.num_named_barrier, 0
	.set _Z16sort_keys_valuesILj256ELj4EN10test_utils16custom_test_typeIiEENS1_IcEENS0_4lessEEvPT1_PT2_T3_.private_seg_size, 0
	.set _Z16sort_keys_valuesILj256ELj4EN10test_utils16custom_test_typeIiEENS1_IcEENS0_4lessEEvPT1_PT2_T3_.uses_vcc, 1
	.set _Z16sort_keys_valuesILj256ELj4EN10test_utils16custom_test_typeIiEENS1_IcEENS0_4lessEEvPT1_PT2_T3_.uses_flat_scratch, 0
	.set _Z16sort_keys_valuesILj256ELj4EN10test_utils16custom_test_typeIiEENS1_IcEENS0_4lessEEvPT1_PT2_T3_.has_dyn_sized_stack, 0
	.set _Z16sort_keys_valuesILj256ELj4EN10test_utils16custom_test_typeIiEENS1_IcEENS0_4lessEEvPT1_PT2_T3_.has_recursion, 0
	.set _Z16sort_keys_valuesILj256ELj4EN10test_utils16custom_test_typeIiEENS1_IcEENS0_4lessEEvPT1_PT2_T3_.has_indirect_call, 0
	.section	.AMDGPU.csdata,"",@progbits
; Kernel info:
; codeLenInByte = 864
; TotalNumSgprs: 10
; NumVgprs: 27
; ScratchSize: 0
; MemoryBound: 0
; FloatMode: 240
; IeeeMode: 1
; LDSByteSize: 0 bytes/workgroup (compile time only)
; SGPRBlocks: 0
; VGPRBlocks: 1
; NumSGPRsForWavesPerEU: 10
; NumVGPRsForWavesPerEU: 27
; NamedBarCnt: 0
; Occupancy: 16
; WaveLimiterHint : 0
; COMPUTE_PGM_RSRC2:SCRATCH_EN: 0
; COMPUTE_PGM_RSRC2:USER_SGPR: 2
; COMPUTE_PGM_RSRC2:TRAP_HANDLER: 0
; COMPUTE_PGM_RSRC2:TGID_X_EN: 1
; COMPUTE_PGM_RSRC2:TGID_Y_EN: 0
; COMPUTE_PGM_RSRC2:TGID_Z_EN: 0
; COMPUTE_PGM_RSRC2:TIDIG_COMP_CNT: 0
	.section	.text._Z16sort_keys_valuesILj256ELj11EdxN10test_utils4lessEEvPT1_PT2_T3_,"axG",@progbits,_Z16sort_keys_valuesILj256ELj11EdxN10test_utils4lessEEvPT1_PT2_T3_,comdat
	.protected	_Z16sort_keys_valuesILj256ELj11EdxN10test_utils4lessEEvPT1_PT2_T3_ ; -- Begin function _Z16sort_keys_valuesILj256ELj11EdxN10test_utils4lessEEvPT1_PT2_T3_
	.globl	_Z16sort_keys_valuesILj256ELj11EdxN10test_utils4lessEEvPT1_PT2_T3_
	.p2align	8
	.type	_Z16sort_keys_valuesILj256ELj11EdxN10test_utils4lessEEvPT1_PT2_T3_,@function
_Z16sort_keys_valuesILj256ELj11EdxN10test_utils4lessEEvPT1_PT2_T3_: ; @_Z16sort_keys_valuesILj256ELj11EdxN10test_utils4lessEEvPT1_PT2_T3_
; %bb.0:
	s_load_b128 s[0:3], s[0:1], 0x0
	s_bfe_u32 s4, ttmp6, 0x4000c
	s_and_b32 s5, ttmp6, 15
	s_add_co_i32 s4, s4, 1
	s_getreg_b32 s6, hwreg(HW_REG_IB_STS2, 6, 4)
	s_mul_i32 s4, ttmp9, s4
	v_mul_u32_u24_e32 v0, 11, v0
	s_add_co_i32 s5, s5, s4
	s_cmp_eq_u32 s6, 0
	s_cselect_b32 s4, ttmp9, s5
	s_mov_b32 s5, 0
	s_mulk_i32 s4, 0xb00
	v_lshlrev_b32_e32 v80, 3, v0
	s_lshl_b64 s[6:7], s[4:5], 3
	s_wait_kmcnt 0x0
	s_add_nc_u64 s[4:5], s[0:1], s[6:7]
	s_add_nc_u64 s[6:7], s[2:3], s[6:7]
	s_clause 0x4
	global_load_b128 v[2:5], v80, s[4:5]
	global_load_b128 v[74:77], v80, s[6:7]
	global_load_b128 v[34:37], v80, s[4:5] offset:16
	global_load_b64 v[72:73], v0, s[4:5] offset:80 scale_offset
	global_load_b64 v[40:41], v0, s[6:7] offset:80 scale_offset
	s_clause 0x6
	global_load_b128 v[10:13], v80, s[4:5] offset:64
	global_load_b128 v[18:21], v80, s[4:5] offset:48
	;; [unrolled: 1-line block ×7, first 2 shown]
	s_mov_b32 s0, exec_lo
	s_wait_loadcnt 0xa
	v_mov_b64_e32 v[78:79], v[74:75]
	v_mov_b64_e32 v[52:53], v[2:3]
	;; [unrolled: 1-line block ×4, first 2 shown]
	s_wait_xcnt 0x0
	v_cmpx_lt_f64_e32 v[4:5], v[2:3]
	s_cbranch_execz .LBB18_2
; %bb.1:
	v_dual_mov_b32 v0, v4 :: v_dual_mov_b32 v1, v5
	v_mov_b64_e32 v[50:51], v[4:5]
	v_mov_b64_e32 v[4:5], v[52:53]
	v_mov_b64_e32 v[78:79], v[76:77]
	v_mov_b64_e32 v[76:77], v[74:75]
	v_mov_b64_e32 v[52:53], v[0:1]
	v_dual_mov_b32 v0, v2 :: v_dual_mov_b32 v1, v3
	s_delay_alu instid0(VALU_DEP_1)
	v_mov_b64_e32 v[54:55], v[0:1]
.LBB18_2:
	s_or_b32 exec_lo, exec_lo, s0
	s_wait_loadcnt 0x9
	v_cmp_lt_f64_e32 vcc_lo, v[36:37], v[34:35]
	s_wait_loadcnt 0x4
	v_cmp_lt_f64_e64 s0, v[28:29], v[26:27]
	v_cmp_lt_f64_e64 s1, v[20:21], v[18:19]
	;; [unrolled: 1-line block ×3, first 2 shown]
	v_dual_cndmask_b32 v59, v37, v35 :: v_dual_cndmask_b32 v58, v36, v34
	v_dual_cndmask_b32 v57, v35, v37 :: v_dual_cndmask_b32 v56, v34, v36
	v_dual_cndmask_b32 v63, v29, v27, s0 :: v_dual_cndmask_b32 v62, v28, v26, s0
	v_dual_cndmask_b32 v67, v21, v19, s1 :: v_dual_cndmask_b32 v61, v27, v29, s0
	;; [unrolled: 1-line block ×3, first 2 shown]
	s_wait_loadcnt 0x3
	v_dual_cndmask_b32 v85, v23, v25, s0 :: v_dual_cndmask_b32 v66, v20, v18, s1
	v_dual_cndmask_b32 v65, v19, v21, s1 :: v_dual_cndmask_b32 v64, v18, v20, s1
	;; [unrolled: 1-line block ×3, first 2 shown]
	s_wait_loadcnt 0x1
	v_dual_cndmask_b32 v68, v10, v12, s2 :: v_dual_cndmask_b32 v45, v17, v15, s1
	v_dual_cndmask_b32 v39, v31, v33 :: v_dual_cndmask_b32 v38, v30, v32
	v_dual_cndmask_b32 v81, v33, v31 :: v_dual_cndmask_b32 v82, v32, v30
	v_dual_cndmask_b32 v86, v22, v24, s0 :: v_dual_cndmask_b32 v49, v25, v23, s0
	v_dual_cndmask_b32 v48, v24, v22, s0 :: v_dual_cndmask_b32 v75, v15, v17, s1
	;; [unrolled: 1-line block ×3, first 2 shown]
	s_wait_loadcnt 0x0
	v_dual_cndmask_b32 v47, v9, v7, s2 :: v_dual_cndmask_b32 v46, v8, v6, s2
	v_dual_cndmask_b32 v87, v7, v9, s2 :: v_dual_cndmask_b32 v88, v6, v8, s2
	v_mov_b64_e32 v[6:7], v[52:53]
	v_mov_b64_e32 v[42:43], v[56:57]
	v_mov_b64_e32 v[8:9], v[54:55]
	v_mov_b64_e32 v[10:11], v[56:57]
	v_mov_b64_e32 v[12:13], v[58:59]
	v_mov_b64_e32 v[14:15], v[60:61]
	v_mov_b64_e32 v[16:17], v[62:63]
	v_mov_b64_e32 v[18:19], v[64:65]
	v_mov_b64_e32 v[20:21], v[66:67]
	v_mov_b64_e32 v[22:23], v[68:69]
	v_mov_b64_e32 v[24:25], v[70:71]
	v_mov_b64_e32 v[26:27], v[72:73]
	s_mov_b32 s0, exec_lo
	v_mov_b64_e32 v[28:29], v[74:75]
	v_mov_b64_e32 v[30:31], v[76:77]
	;; [unrolled: 1-line block ×5, first 2 shown]
	v_cmpx_lt_f64_e32 v[56:57], v[4:5]
	s_xor_b32 s0, exec_lo, s0
	s_cbranch_execz .LBB18_4
; %bb.3:
	v_dual_mov_b32 v0, v52 :: v_dual_mov_b32 v1, v53
	v_mov_b64_e32 v[52:53], v[76:77]
	v_dual_mov_b32 v2, v56 :: v_dual_mov_b32 v3, v57
	v_dual_mov_b32 v6, v58 :: v_dual_mov_b32 v7, v59
	;; [unrolled: 1-line block ×9, first 2 shown]
	v_mov_b64_e32 v[36:37], v[30:31]
	v_mov_b64_e32 v[42:43], v[4:5]
	;; [unrolled: 1-line block ×20, first 2 shown]
.LBB18_4:
	s_or_b32 exec_lo, exec_lo, s0
	v_cmp_lt_f64_e32 vcc_lo, v[14:15], v[12:13]
	v_cmp_lt_f64_e64 s0, v[18:19], v[16:17]
	v_cmp_lt_f64_e64 s1, v[22:23], v[20:21]
	;; [unrolled: 1-line block ×4, first 2 shown]
	v_dual_cndmask_b32 v57, v15, v13 :: v_dual_cndmask_b32 v84, v82, v86
	v_dual_cndmask_b32 v83, v81, v85 :: v_dual_cndmask_b32 v72, v86, v82
	v_dual_cndmask_b32 v73, v85, v81, vcc_lo :: v_dual_cndmask_b32 v82, v48, v74, s0
	v_dual_cndmask_b32 v61, v19, v17, s0 :: v_dual_cndmask_b32 v81, v49, v75, s0
	v_dual_cndmask_b32 v71, v75, v49, s0 :: v_dual_cndmask_b32 v70, v74, v48, s0
	;; [unrolled: 1-line block ×5, first 2 shown]
	v_dual_cndmask_b32 v56, v14, v12 :: v_dual_cndmask_b32 v13, v13, v15
	v_dual_cndmask_b32 v12, v12, v14, vcc_lo :: v_dual_cndmask_b32 v60, v18, v16, s0
	v_dual_cndmask_b32 v64, v22, v20, s1 :: v_dual_cndmask_b32 v21, v21, v23, s1
	v_dual_cndmask_b32 v20, v20, v22, s1 :: v_dual_cndmask_b32 v68, v26, v24, s2
	v_dual_cndmask_b32 v1, v41, v47, s2 :: v_dual_cndmask_b32 v41, v47, v41, s2
	v_dual_cndmask_b32 v0, v40, v46, s2 :: v_dual_cndmask_b32 v40, v46, v40, s2
	v_mov_b64_e32 v[46:47], v[50:51]
	v_dual_cndmask_b32 v17, v17, v19, s0 :: v_dual_cndmask_b32 v16, v16, v18, s0
	v_dual_cndmask_b32 v25, v25, v27, s2 :: v_dual_cndmask_b32 v24, v24, v26, s2
	v_dual_mov_b32 v14, v56 :: v_dual_mov_b32 v15, v57
	v_dual_mov_b32 v18, v60 :: v_dual_mov_b32 v19, v61
	;; [unrolled: 1-line block ×4, first 2 shown]
	s_and_saveexec_b32 s0, s3
	s_cbranch_execz .LBB18_6
; %bb.5:
	v_mov_b64_e32 v[2:3], v[78:79]
	v_mov_b64_e32 v[78:79], v[76:77]
	v_dual_mov_b32 v48, v4 :: v_dual_mov_b32 v49, v5
	v_dual_mov_b32 v52, v10 :: v_dual_mov_b32 v53, v11
	;; [unrolled: 1-line block ×6, first 2 shown]
	v_mov_b64_e32 v[6:7], v[48:49]
	v_mov_b64_e32 v[46:47], v[4:5]
	;; [unrolled: 1-line block ×19, first 2 shown]
.LBB18_6:
	s_or_b32 exec_lo, exec_lo, s0
	v_cmp_lt_f64_e32 vcc_lo, v[12:13], v[42:43]
	v_cmp_lt_f64_e64 s0, v[16:17], v[14:15]
	v_cmp_lt_f64_e64 s1, v[20:21], v[18:19]
	;; [unrolled: 1-line block ×3, first 2 shown]
	v_dual_cndmask_b32 v49, v43, v13 :: v_dual_cndmask_b32 v48, v42, v12
	v_dual_cndmask_b32 v50, v13, v43, vcc_lo :: v_dual_cndmask_b32 v2, v38, v84, vcc_lo
	v_cndmask_b32_e64 v51, v17, v15, s0
	v_dual_cndmask_b32 v53, v21, v19, s1 :: v_dual_cndmask_b32 v36, v70, v74, s1
	s_delay_alu instid0(VALU_DEP_4)
	v_cmp_lt_f64_e64 s3, v[48:49], v[4:5]
	v_dual_cndmask_b32 v52, v25, v23, s2 :: v_dual_cndmask_b32 v30, v40, v44, s2
	v_dual_cndmask_b32 v42, v12, v42 :: v_dual_cndmask_b32 v11, v11, v13
	v_dual_cndmask_b32 v55, v16, v14, s0 :: v_dual_cndmask_b32 v14, v14, v16, s0
	v_dual_cndmask_b32 v19, v19, v21, s1 :: v_dual_cndmask_b32 v54, v20, v18, s1
	;; [unrolled: 1-line block ×5, first 2 shown]
	v_mov_b64_e32 v[40:41], v[48:49]
	v_dual_cndmask_b32 v3, v39, v83 :: v_dual_cndmask_b32 v28, v84, v38
	v_dual_cndmask_b32 v29, v83, v39, vcc_lo :: v_dual_cndmask_b32 v39, v73, v81, s0
	v_dual_cndmask_b32 v35, v81, v73, s0 :: v_dual_cndmask_b32 v34, v82, v72, s0
	v_dual_cndmask_b32 v38, v72, v82, s0 :: v_dual_cndmask_b32 v37, v71, v75, s1
	v_cndmask_b32_e64 v32, v74, v70, s1
	v_dual_cndmask_b32 v10, v10, v12, vcc_lo :: v_dual_cndmask_b32 v15, v15, v17, s0
	v_dual_cndmask_b32 v18, v18, v20, s1 :: v_dual_cndmask_b32 v23, v23, v25, s2
	v_dual_mov_b32 v12, v42 :: v_dual_mov_b32 v13, v50
	v_dual_mov_b32 v16, v55 :: v_dual_mov_b32 v17, v51
	;; [unrolled: 1-line block ×4, first 2 shown]
	s_and_saveexec_b32 s0, s3
	s_cbranch_execz .LBB18_8
; %bb.7:
	v_dual_mov_b32 v12, v42 :: v_dual_mov_b32 v13, v50
	v_dual_mov_b32 v24, v43 :: v_dual_mov_b32 v25, v52
	v_mov_b64_e32 v[42:43], v[76:77]
	v_dual_mov_b32 v10, v4 :: v_dual_mov_b32 v11, v5
	v_mov_b64_e32 v[40:41], v[4:5]
	v_mov_b64_e32 v[4:5], v[48:49]
	;; [unrolled: 1-line block ×3, first 2 shown]
	v_dual_mov_b32 v8, v48 :: v_dual_mov_b32 v9, v49
	v_mov_b64_e32 v[2:3], v[42:43]
	v_dual_mov_b32 v16, v55 :: v_dual_mov_b32 v17, v51
	v_dual_mov_b32 v20, v54 :: v_dual_mov_b32 v21, v53
.LBB18_8:
	s_or_b32 exec_lo, exec_lo, s0
	v_cmp_lt_f64_e32 vcc_lo, v[14:15], v[12:13]
	s_delay_alu instid0(VALU_DEP_3) | instskip(NEXT) | instid1(VALU_DEP_3)
	v_cmp_lt_f64_e64 s0, v[18:19], v[16:17]
	v_cmp_lt_f64_e64 s1, v[22:23], v[20:21]
	;; [unrolled: 1-line block ×4, first 2 shown]
	v_mov_b64_e32 v[42:43], v[46:47]
	v_dual_cndmask_b32 v53, v15, v13, vcc_lo :: v_dual_cndmask_b32 v83, v29, v39, vcc_lo
	v_dual_cndmask_b32 v70, v38, v28, vcc_lo :: v_dual_cndmask_b32 v57, v19, v17, s0
	v_dual_cndmask_b32 v61, v23, v21, s1 :: v_dual_cndmask_b32 v72, v32, v44, s1
	v_dual_cndmask_b32 v65, v27, v25, s2 :: v_dual_cndmask_b32 v52, v14, v12, vcc_lo
	v_dual_cndmask_b32 v13, v13, v15 :: v_dual_cndmask_b32 v12, v12, v14
	v_cndmask_b32_e64 v56, v18, v16, s0
	v_dual_cndmask_b32 v60, v22, v20, s1 :: v_dual_cndmask_b32 v21, v21, v23, s1
	v_dual_cndmask_b32 v20, v20, v22, s1 :: v_dual_cndmask_b32 v64, v26, v24, s2
	v_dual_cndmask_b32 v71, v39, v29 :: v_dual_cndmask_b32 v84, v28, v38
	v_dual_cndmask_b32 v75, v35, v37, s0 :: v_dual_cndmask_b32 v69, v37, v35, s0
	v_dual_cndmask_b32 v74, v34, v36, s0 :: v_dual_cndmask_b32 v68, v36, v34, s0
	;; [unrolled: 1-line block ×7, first 2 shown]
	v_cndmask_b32_e64 v24, v24, v26, s2
	v_dual_mov_b32 v14, v52 :: v_dual_mov_b32 v15, v53
	v_dual_mov_b32 v18, v56 :: v_dual_mov_b32 v19, v57
	;; [unrolled: 1-line block ×4, first 2 shown]
	s_and_saveexec_b32 s0, s3
	s_cbranch_execz .LBB18_10
; %bb.9:
	v_mov_b64_e32 v[0:1], v[78:79]
	v_dual_mov_b32 v44, v4 :: v_dual_mov_b32 v45, v5
	v_dual_mov_b32 v48, v10 :: v_dual_mov_b32 v49, v11
	;; [unrolled: 1-line block ×6, first 2 shown]
	v_mov_b64_e32 v[6:7], v[44:45]
	v_mov_b64_e32 v[42:43], v[4:5]
	;; [unrolled: 1-line block ×20, first 2 shown]
.LBB18_10:
	s_or_b32 exec_lo, exec_lo, s0
	v_cmp_lt_f64_e32 vcc_lo, v[12:13], v[40:41]
	v_cmp_lt_f64_e64 s0, v[16:17], v[14:15]
	v_cmp_lt_f64_e64 s1, v[20:21], v[18:19]
	;; [unrolled: 1-line block ×3, first 2 shown]
	v_dual_cndmask_b32 v47, v41, v13 :: v_dual_cndmask_b32 v46, v40, v12
	v_dual_cndmask_b32 v48, v13, v41 :: v_dual_cndmask_b32 v1, v3, v83
	;; [unrolled: 1-line block ×3, first 2 shown]
	s_delay_alu instid0(VALU_DEP_3)
	v_cmp_lt_f64_e64 s3, v[46:47], v[4:5]
	v_dual_cndmask_b32 v2, v84, v2, vcc_lo :: v_dual_cndmask_b32 v49, v17, v15, s0
	v_dual_cndmask_b32 v51, v21, v19, s1 :: v_dual_cndmask_b32 v34, v68, v72, s1
	v_dual_cndmask_b32 v50, v25, v23, s2 :: v_dual_cndmask_b32 v45, v67, v81, s2
	v_dual_cndmask_b32 v40, v12, v40 :: v_dual_cndmask_b32 v11, v11, v13
	v_dual_cndmask_b32 v53, v16, v14, s0 :: v_dual_cndmask_b32 v14, v14, v16, s0
	v_dual_cndmask_b32 v19, v19, v21, s1 :: v_dual_cndmask_b32 v52, v20, v18, s1
	v_dual_cndmask_b32 v41, v24, v22, s2 :: v_dual_cndmask_b32 v22, v22, v24, s2
	v_mov_b64_e32 v[64:65], v[46:47]
	v_dual_cndmask_b32 v37, v71, v75, s0 :: v_dual_cndmask_b32 v36, v70, v74, s0
	v_dual_cndmask_b32 v33, v75, v71, s0 :: v_dual_cndmask_b32 v32, v74, v70, s0
	;; [unrolled: 1-line block ×5, first 2 shown]
	v_dual_cndmask_b32 v10, v10, v12, vcc_lo :: v_dual_cndmask_b32 v15, v15, v17, s0
	v_dual_cndmask_b32 v18, v18, v20, s1 :: v_dual_cndmask_b32 v23, v23, v25, s2
	v_dual_mov_b32 v12, v40 :: v_dual_mov_b32 v13, v48
	v_dual_mov_b32 v16, v53 :: v_dual_mov_b32 v17, v49
	;; [unrolled: 1-line block ×4, first 2 shown]
	s_and_saveexec_b32 s0, s3
	s_cbranch_execz .LBB18_12
; %bb.11:
	v_dual_mov_b32 v12, v40 :: v_dual_mov_b32 v13, v48
	v_dual_mov_b32 v24, v41 :: v_dual_mov_b32 v25, v50
	v_mov_b64_e32 v[40:41], v[76:77]
	v_dual_mov_b32 v10, v4 :: v_dual_mov_b32 v11, v5
	v_mov_b64_e32 v[64:65], v[4:5]
	v_mov_b64_e32 v[4:5], v[46:47]
	v_mov_b64_e32 v[76:77], v[0:1]
	v_dual_mov_b32 v8, v46 :: v_dual_mov_b32 v9, v47
	v_mov_b64_e32 v[0:1], v[40:41]
	v_dual_mov_b32 v16, v53 :: v_dual_mov_b32 v17, v49
	v_dual_mov_b32 v20, v52 :: v_dual_mov_b32 v21, v51
.LBB18_12:
	s_or_b32 exec_lo, exec_lo, s0
	v_cmp_lt_f64_e32 vcc_lo, v[14:15], v[12:13]
	s_delay_alu instid0(VALU_DEP_3) | instskip(NEXT) | instid1(VALU_DEP_3)
	v_cmp_lt_f64_e64 s0, v[18:19], v[16:17]
	v_cmp_lt_f64_e64 s1, v[22:23], v[20:21]
	;; [unrolled: 1-line block ×4, first 2 shown]
	v_dual_cndmask_b32 v49, v15, v13, vcc_lo :: v_dual_cndmask_b32 v71, v37, v3, vcc_lo
	v_dual_cndmask_b32 v70, v36, v2, vcc_lo :: v_dual_cndmask_b32 v53, v19, v17, s0
	v_dual_cndmask_b32 v57, v23, v21, s1 :: v_dual_cndmask_b32 v67, v45, v31, s1
	v_dual_cndmask_b32 v66, v44, v30, s1 :: v_dual_cndmask_b32 v61, v27, v25, s2
	v_dual_cndmask_b32 v48, v14, v12 :: v_dual_cndmask_b32 v13, v13, v15
	v_dual_cndmask_b32 v12, v12, v14, vcc_lo :: v_dual_cndmask_b32 v52, v18, v16, s0
	v_dual_cndmask_b32 v56, v22, v20, s1 :: v_dual_cndmask_b32 v21, v21, v23, s1
	v_dual_cndmask_b32 v20, v20, v22, s1 :: v_dual_cndmask_b32 v60, v26, v24, s2
	;; [unrolled: 1-line block ×4, first 2 shown]
	v_mov_b64_e32 v[38:39], v[42:43]
	v_dual_cndmask_b32 v83, v3, v37 :: v_dual_cndmask_b32 v84, v2, v36
	v_dual_cndmask_b32 v75, v33, v35, s0 :: v_dual_cndmask_b32 v69, v35, v33, s0
	v_dual_cndmask_b32 v74, v32, v34, s0 :: v_dual_cndmask_b32 v68, v34, v32, s0
	v_dual_cndmask_b32 v73, v31, v45, s1 :: v_dual_cndmask_b32 v72, v30, v44, s1
	v_dual_cndmask_b32 v17, v17, v19, s0 :: v_dual_cndmask_b32 v16, v16, v18, s0
	v_dual_cndmask_b32 v25, v25, v27, s2 :: v_dual_cndmask_b32 v24, v24, v26, s2
	v_dual_mov_b32 v14, v48 :: v_dual_mov_b32 v15, v49
	v_dual_mov_b32 v18, v52 :: v_dual_mov_b32 v19, v53
	;; [unrolled: 1-line block ×4, first 2 shown]
	s_and_saveexec_b32 s0, s3
	s_cbranch_execz .LBB18_14
; %bb.13:
	v_mov_b64_e32 v[2:3], v[78:79]
	v_dual_mov_b32 v40, v4 :: v_dual_mov_b32 v41, v5
	v_dual_mov_b32 v44, v10 :: v_dual_mov_b32 v45, v11
	;; [unrolled: 1-line block ×6, first 2 shown]
	v_mov_b64_e32 v[6:7], v[40:41]
	v_mov_b64_e32 v[38:39], v[4:5]
	;; [unrolled: 1-line block ×20, first 2 shown]
.LBB18_14:
	s_or_b32 exec_lo, exec_lo, s0
	v_cmp_lt_f64_e32 vcc_lo, v[12:13], v[64:65]
	v_cmp_lt_f64_e64 s0, v[16:17], v[14:15]
	v_cmp_lt_f64_e64 s1, v[20:21], v[18:19]
	;; [unrolled: 1-line block ×3, first 2 shown]
	v_dual_cndmask_b32 v43, v65, v13 :: v_dual_cndmask_b32 v42, v64, v12
	v_dual_cndmask_b32 v44, v13, v65, vcc_lo :: v_dual_cndmask_b32 v2, v0, v84, vcc_lo
	v_dual_cndmask_b32 v0, v84, v0, vcc_lo :: v_dual_cndmask_b32 v45, v17, v15, s0
	s_delay_alu instid0(VALU_DEP_3)
	v_cmp_lt_f64_e64 s3, v[42:43], v[4:5]
	v_dual_cndmask_b32 v47, v21, v19, s1 :: v_dual_cndmask_b32 v34, v68, v72, s1
	v_dual_cndmask_b32 v46, v25, v23, s2 :: v_dual_cndmask_b32 v41, v67, v81, s2
	v_dual_cndmask_b32 v48, v12, v64 :: v_dual_cndmask_b32 v11, v11, v13
	v_dual_cndmask_b32 v51, v16, v14, s0 :: v_dual_cndmask_b32 v14, v14, v16, s0
	v_dual_cndmask_b32 v19, v19, v21, s1 :: v_dual_cndmask_b32 v50, v20, v18, s1
	;; [unrolled: 1-line block ×3, first 2 shown]
	v_mov_b64_e32 v[60:61], v[42:43]
	v_dual_cndmask_b32 v3, v1, v83, vcc_lo :: v_dual_cndmask_b32 v1, v83, v1, vcc_lo
	v_dual_cndmask_b32 v37, v71, v75, s0 :: v_dual_cndmask_b32 v36, v70, v74, s0
	v_dual_cndmask_b32 v33, v75, v71, s0 :: v_dual_cndmask_b32 v32, v74, v70, s0
	v_dual_cndmask_b32 v35, v69, v73, s1 :: v_dual_cndmask_b32 v30, v72, v68, s1
	v_dual_cndmask_b32 v31, v73, v69, s1 :: v_dual_cndmask_b32 v28, v82, v66, s2
	v_dual_cndmask_b32 v29, v81, v67, s2 :: v_dual_cndmask_b32 v40, v66, v82, s2
	v_dual_cndmask_b32 v10, v10, v12, vcc_lo :: v_dual_cndmask_b32 v15, v15, v17, s0
	v_dual_cndmask_b32 v18, v18, v20, s1 :: v_dual_cndmask_b32 v23, v23, v25, s2
	v_dual_mov_b32 v12, v48 :: v_dual_mov_b32 v13, v44
	v_dual_mov_b32 v16, v51 :: v_dual_mov_b32 v17, v45
	;; [unrolled: 1-line block ×4, first 2 shown]
	v_mov_b32_e32 v81, 0
	s_and_saveexec_b32 s0, s3
	s_cbranch_execz .LBB18_16
; %bb.15:
	v_dual_mov_b32 v12, v48 :: v_dual_mov_b32 v13, v44
	v_dual_mov_b32 v16, v51 :: v_dual_mov_b32 v17, v45
	v_mov_b64_e32 v[44:45], v[76:77]
	v_dual_mov_b32 v10, v4 :: v_dual_mov_b32 v11, v5
	v_mov_b64_e32 v[60:61], v[4:5]
	v_mov_b64_e32 v[4:5], v[42:43]
	;; [unrolled: 1-line block ×3, first 2 shown]
	v_dual_mov_b32 v8, v42 :: v_dual_mov_b32 v9, v43
	v_mov_b64_e32 v[2:3], v[44:45]
	v_dual_mov_b32 v20, v50 :: v_dual_mov_b32 v21, v47
	v_dual_mov_b32 v24, v49 :: v_dual_mov_b32 v25, v46
.LBB18_16:
	s_or_b32 exec_lo, exec_lo, s0
	v_cmp_lt_f64_e32 vcc_lo, v[14:15], v[12:13]
	v_cmp_lt_f64_e64 s0, v[18:19], v[16:17]
	v_cmp_lt_f64_e64 s1, v[22:23], v[20:21]
	;; [unrolled: 1-line block ×4, first 2 shown]
	v_mov_b64_e32 v[58:59], v[38:39]
	v_dual_cndmask_b32 v45, v15, v13 :: v_dual_cndmask_b32 v74, v0, v36
	v_dual_cndmask_b32 v49, v19, v17, s0 :: v_dual_cndmask_b32 v73, v33, v35, s0
	v_dual_cndmask_b32 v53, v23, v21, s1 :: v_dual_cndmask_b32 v65, v41, v31, s1
	;; [unrolled: 1-line block ×3, first 2 shown]
	v_dual_cndmask_b32 v44, v14, v12 :: v_dual_cndmask_b32 v13, v13, v15
	v_dual_cndmask_b32 v12, v12, v14, vcc_lo :: v_dual_cndmask_b32 v48, v18, v16, s0
	v_dual_cndmask_b32 v52, v22, v20, s1 :: v_dual_cndmask_b32 v21, v21, v23, s1
	v_dual_cndmask_b32 v20, v20, v22, s1 :: v_dual_cndmask_b32 v56, v26, v24, s2
	v_dual_cndmask_b32 v75, v1, v37 :: v_dual_cndmask_b32 v68, v36, v0
	v_dual_cndmask_b32 v69, v37, v1, vcc_lo :: v_dual_cndmask_b32 v72, v32, v34, s0
	v_dual_cndmask_b32 v67, v35, v33, s0 :: v_dual_cndmask_b32 v66, v34, v32, s0
	v_dual_cndmask_b32 v71, v31, v41, s1 :: v_dual_cndmask_b32 v70, v30, v40, s1
	v_dual_cndmask_b32 v1, v63, v29, s2 :: v_dual_cndmask_b32 v63, v29, v63, s2
	v_dual_cndmask_b32 v0, v62, v28, s2 :: v_dual_cndmask_b32 v62, v28, v62, s2
	v_dual_cndmask_b32 v17, v17, v19, s0 :: v_dual_cndmask_b32 v16, v16, v18, s0
	v_dual_cndmask_b32 v25, v25, v27, s2 :: v_dual_cndmask_b32 v24, v24, v26, s2
	v_dual_mov_b32 v14, v44 :: v_dual_mov_b32 v15, v45
	v_dual_mov_b32 v18, v48 :: v_dual_mov_b32 v19, v49
	;; [unrolled: 1-line block ×4, first 2 shown]
	s_and_saveexec_b32 s0, s3
	s_cbranch_execz .LBB18_18
; %bb.17:
	v_mov_b64_e32 v[82:83], v[78:79]
	v_dual_mov_b32 v36, v4 :: v_dual_mov_b32 v37, v5
	v_dual_mov_b32 v40, v10 :: v_dual_mov_b32 v41, v11
	;; [unrolled: 1-line block ×6, first 2 shown]
	v_mov_b64_e32 v[58:59], v[4:5]
	v_mov_b64_e32 v[6:7], v[36:37]
	;; [unrolled: 1-line block ×20, first 2 shown]
.LBB18_18:
	s_or_b32 exec_lo, exec_lo, s0
	v_cmp_lt_f64_e32 vcc_lo, v[12:13], v[60:61]
	v_cmp_lt_f64_e64 s0, v[16:17], v[14:15]
	v_cmp_lt_f64_e64 s1, v[20:21], v[18:19]
	;; [unrolled: 1-line block ×3, first 2 shown]
	v_add_nc_u64_e32 v[30:31], s[4:5], v[80:81]
	v_dual_cndmask_b32 v49, v61, v13 :: v_dual_cndmask_b32 v48, v60, v12
	v_dual_cndmask_b32 v50, v13, v61 :: v_dual_cndmask_b32 v29, v3, v75
	v_dual_cndmask_b32 v32, v74, v2, vcc_lo :: v_dual_cndmask_b32 v51, v17, v15, s0
	s_delay_alu instid0(VALU_DEP_3)
	v_cmp_lt_f64_e64 s3, v[48:49], v[4:5]
	v_dual_cndmask_b32 v53, v21, v19, s1 :: v_dual_cndmask_b32 v42, v66, v70, s1
	v_dual_cndmask_b32 v52, v25, v23, s2 :: v_dual_cndmask_b32 v37, v63, v65, s2
	v_dual_cndmask_b32 v54, v12, v60 :: v_dual_cndmask_b32 v11, v11, v13
	v_dual_cndmask_b32 v57, v16, v14, s0 :: v_dual_cndmask_b32 v14, v14, v16, s0
	v_dual_cndmask_b32 v19, v19, v21, s1 :: v_dual_cndmask_b32 v56, v20, v18, s1
	;; [unrolled: 1-line block ×3, first 2 shown]
	v_dual_cndmask_b32 v28, v2, v74 :: v_dual_cndmask_b32 v35, v75, v3
	v_add_nc_u64_e32 v[2:3], s[6:7], v[80:81]
	v_mov_b64_e32 v[46:47], v[48:49]
	v_dual_cndmask_b32 v41, v69, v73, s0 :: v_dual_cndmask_b32 v40, v68, v72, s0
	v_dual_cndmask_b32 v39, v73, v69, s0 :: v_dual_cndmask_b32 v38, v72, v68, s0
	;; [unrolled: 1-line block ×5, first 2 shown]
	v_dual_cndmask_b32 v10, v10, v12, vcc_lo :: v_dual_cndmask_b32 v15, v15, v17, s0
	v_dual_cndmask_b32 v18, v18, v20, s1 :: v_dual_cndmask_b32 v23, v23, v25, s2
	v_dual_mov_b32 v24, v54 :: v_dual_mov_b32 v25, v50
	v_dual_mov_b32 v20, v57 :: v_dual_mov_b32 v21, v51
	v_dual_mov_b32 v16, v56 :: v_dual_mov_b32 v17, v53
	v_dual_mov_b32 v12, v55 :: v_dual_mov_b32 v13, v52
	s_and_saveexec_b32 s0, s3
	s_cbranch_execz .LBB18_20
; %bb.19:
	v_dual_mov_b32 v24, v54 :: v_dual_mov_b32 v25, v50
	v_dual_mov_b32 v20, v57 :: v_dual_mov_b32 v21, v51
	v_mov_b64_e32 v[50:51], v[76:77]
	v_dual_mov_b32 v10, v4 :: v_dual_mov_b32 v11, v5
	v_mov_b64_e32 v[46:47], v[4:5]
	v_mov_b64_e32 v[4:5], v[48:49]
	;; [unrolled: 1-line block ×3, first 2 shown]
	v_dual_mov_b32 v8, v48 :: v_dual_mov_b32 v9, v49
	v_mov_b64_e32 v[28:29], v[50:51]
	v_dual_mov_b32 v16, v56 :: v_dual_mov_b32 v17, v53
	v_dual_mov_b32 v12, v55 :: v_dual_mov_b32 v13, v52
.LBB18_20:
	s_or_b32 exec_lo, exec_lo, s0
	v_cmp_lt_f64_e32 vcc_lo, v[4:5], v[58:59]
	v_cmp_lt_f64_e64 s0, v[14:15], v[24:25]
	v_cmp_lt_f64_e64 s1, v[18:19], v[20:21]
	;; [unrolled: 1-line block ×4, first 2 shown]
	v_dual_cndmask_b32 v9, v9, v59, vcc_lo :: v_dual_cndmask_b32 v7, v7, v5, vcc_lo
	v_dual_cndmask_b32 v6, v6, v4, vcc_lo :: v_dual_cndmask_b32 v5, v15, v25, s0
	v_dual_cndmask_b32 v61, v38, v42, s1 :: v_dual_cndmask_b32 v49, v25, v15, s0
	v_dual_cndmask_b32 v48, v24, v14, s0 :: v_dual_cndmask_b32 v4, v14, v24, s0
	;; [unrolled: 1-line block ×14, first 2 shown]
	v_cmp_lt_f64_e64 s0, v[48:49], v[46:47]
	v_cmp_lt_f64_e64 s1, v[24:25], v[4:5]
	;; [unrolled: 1-line block ×3, first 2 shown]
	s_delay_alu instid0(VALU_DEP_4)
	v_cmp_lt_f64_e64 s2, v[44:45], v[50:51]
	v_dual_cndmask_b32 v55, v1, v37, s3 :: v_dual_cndmask_b32 v0, v36, v0, s3
	v_dual_cndmask_b32 v1, v37, v1, s3 :: v_dual_cndmask_b32 v8, v8, v58, vcc_lo
	v_dual_cndmask_b32 v15, v77, v79 :: v_dual_cndmask_b32 v14, v76, v78
	v_dual_cndmask_b32 v13, v79, v77 :: v_dual_cndmask_b32 v12, v78, v76
	v_cndmask_b32_e64 v19, v49, v47, s0
	v_dual_cndmask_b32 v23, v25, v5, s1 :: v_dual_cndmask_b32 v18, v48, v46, s0
	v_dual_cndmask_b32 v17, v11, v49, s0 :: v_dual_cndmask_b32 v16, v10, v48, s0
	;; [unrolled: 1-line block ×10, first 2 shown]
	v_cndmask_b32_e64 v32, v28, v32, s0
	v_dual_cndmask_b32 v38, v61, v56, s1 :: v_dual_cndmask_b32 v36, v56, v61, s1
	v_dual_cndmask_b32 v43, v67, v62, s4 :: v_dual_cndmask_b32 v42, v65, v60, s4
	;; [unrolled: 1-line block ×5, first 2 shown]
	s_clause 0x5
	global_store_b128 v[30:31], v[6:9], off
	global_store_b128 v[30:31], v[16:19], off offset:16
	global_store_b128 v[30:31], v[20:23], off offset:32
	;; [unrolled: 1-line block ×4, first 2 shown]
	global_store_b64 v[30:31], v[52:53], off offset:80
	s_clause 0x5
	global_store_b128 v[2:3], v[12:15], off
	global_store_b128 v[2:3], v[32:35], off offset:16
	global_store_b128 v[2:3], v[36:39], off offset:32
	;; [unrolled: 1-line block ×4, first 2 shown]
	global_store_b64 v[2:3], v[54:55], off offset:80
	s_sendmsg sendmsg(MSG_DEALLOC_VGPRS)
	s_endpgm
	.section	.rodata,"a",@progbits
	.p2align	6, 0x0
	.amdhsa_kernel _Z16sort_keys_valuesILj256ELj11EdxN10test_utils4lessEEvPT1_PT2_T3_
		.amdhsa_group_segment_fixed_size 0
		.amdhsa_private_segment_fixed_size 0
		.amdhsa_kernarg_size 20
		.amdhsa_user_sgpr_count 2
		.amdhsa_user_sgpr_dispatch_ptr 0
		.amdhsa_user_sgpr_queue_ptr 0
		.amdhsa_user_sgpr_kernarg_segment_ptr 1
		.amdhsa_user_sgpr_dispatch_id 0
		.amdhsa_user_sgpr_kernarg_preload_length 0
		.amdhsa_user_sgpr_kernarg_preload_offset 0
		.amdhsa_user_sgpr_private_segment_size 0
		.amdhsa_wavefront_size32 1
		.amdhsa_uses_dynamic_stack 0
		.amdhsa_enable_private_segment 0
		.amdhsa_system_sgpr_workgroup_id_x 1
		.amdhsa_system_sgpr_workgroup_id_y 0
		.amdhsa_system_sgpr_workgroup_id_z 0
		.amdhsa_system_sgpr_workgroup_info 0
		.amdhsa_system_vgpr_workitem_id 0
		.amdhsa_next_free_vgpr 89
		.amdhsa_next_free_sgpr 8
		.amdhsa_named_barrier_count 0
		.amdhsa_reserve_vcc 1
		.amdhsa_float_round_mode_32 0
		.amdhsa_float_round_mode_16_64 0
		.amdhsa_float_denorm_mode_32 3
		.amdhsa_float_denorm_mode_16_64 3
		.amdhsa_fp16_overflow 0
		.amdhsa_memory_ordered 1
		.amdhsa_forward_progress 1
		.amdhsa_inst_pref_size 35
		.amdhsa_round_robin_scheduling 0
		.amdhsa_exception_fp_ieee_invalid_op 0
		.amdhsa_exception_fp_denorm_src 0
		.amdhsa_exception_fp_ieee_div_zero 0
		.amdhsa_exception_fp_ieee_overflow 0
		.amdhsa_exception_fp_ieee_underflow 0
		.amdhsa_exception_fp_ieee_inexact 0
		.amdhsa_exception_int_div_zero 0
	.end_amdhsa_kernel
	.section	.text._Z16sort_keys_valuesILj256ELj11EdxN10test_utils4lessEEvPT1_PT2_T3_,"axG",@progbits,_Z16sort_keys_valuesILj256ELj11EdxN10test_utils4lessEEvPT1_PT2_T3_,comdat
.Lfunc_end18:
	.size	_Z16sort_keys_valuesILj256ELj11EdxN10test_utils4lessEEvPT1_PT2_T3_, .Lfunc_end18-_Z16sort_keys_valuesILj256ELj11EdxN10test_utils4lessEEvPT1_PT2_T3_
                                        ; -- End function
	.set _Z16sort_keys_valuesILj256ELj11EdxN10test_utils4lessEEvPT1_PT2_T3_.num_vgpr, 89
	.set _Z16sort_keys_valuesILj256ELj11EdxN10test_utils4lessEEvPT1_PT2_T3_.num_agpr, 0
	.set _Z16sort_keys_valuesILj256ELj11EdxN10test_utils4lessEEvPT1_PT2_T3_.numbered_sgpr, 8
	.set _Z16sort_keys_valuesILj256ELj11EdxN10test_utils4lessEEvPT1_PT2_T3_.num_named_barrier, 0
	.set _Z16sort_keys_valuesILj256ELj11EdxN10test_utils4lessEEvPT1_PT2_T3_.private_seg_size, 0
	.set _Z16sort_keys_valuesILj256ELj11EdxN10test_utils4lessEEvPT1_PT2_T3_.uses_vcc, 1
	.set _Z16sort_keys_valuesILj256ELj11EdxN10test_utils4lessEEvPT1_PT2_T3_.uses_flat_scratch, 0
	.set _Z16sort_keys_valuesILj256ELj11EdxN10test_utils4lessEEvPT1_PT2_T3_.has_dyn_sized_stack, 0
	.set _Z16sort_keys_valuesILj256ELj11EdxN10test_utils4lessEEvPT1_PT2_T3_.has_recursion, 0
	.set _Z16sort_keys_valuesILj256ELj11EdxN10test_utils4lessEEvPT1_PT2_T3_.has_indirect_call, 0
	.section	.AMDGPU.csdata,"",@progbits
; Kernel info:
; codeLenInByte = 4456
; TotalNumSgprs: 10
; NumVgprs: 89
; ScratchSize: 0
; MemoryBound: 1
; FloatMode: 240
; IeeeMode: 1
; LDSByteSize: 0 bytes/workgroup (compile time only)
; SGPRBlocks: 0
; VGPRBlocks: 5
; NumSGPRsForWavesPerEU: 10
; NumVGPRsForWavesPerEU: 89
; NamedBarCnt: 0
; Occupancy: 10
; WaveLimiterHint : 0
; COMPUTE_PGM_RSRC2:SCRATCH_EN: 0
; COMPUTE_PGM_RSRC2:USER_SGPR: 2
; COMPUTE_PGM_RSRC2:TRAP_HANDLER: 0
; COMPUTE_PGM_RSRC2:TGID_X_EN: 1
; COMPUTE_PGM_RSRC2:TGID_Y_EN: 0
; COMPUTE_PGM_RSRC2:TGID_Z_EN: 0
; COMPUTE_PGM_RSRC2:TIDIG_COMP_CNT: 0
	.section	.text._Z16sort_keys_valuesILj256ELj10EhiN10test_utils4lessEEvPT1_PT2_T3_,"axG",@progbits,_Z16sort_keys_valuesILj256ELj10EhiN10test_utils4lessEEvPT1_PT2_T3_,comdat
	.protected	_Z16sort_keys_valuesILj256ELj10EhiN10test_utils4lessEEvPT1_PT2_T3_ ; -- Begin function _Z16sort_keys_valuesILj256ELj10EhiN10test_utils4lessEEvPT1_PT2_T3_
	.globl	_Z16sort_keys_valuesILj256ELj10EhiN10test_utils4lessEEvPT1_PT2_T3_
	.p2align	8
	.type	_Z16sort_keys_valuesILj256ELj10EhiN10test_utils4lessEEvPT1_PT2_T3_,@function
_Z16sort_keys_valuesILj256ELj10EhiN10test_utils4lessEEvPT1_PT2_T3_: ; @_Z16sort_keys_valuesILj256ELj10EhiN10test_utils4lessEEvPT1_PT2_T3_
; %bb.0:
	s_load_b128 s[0:3], s[0:1], 0x0
	s_bfe_u32 s4, ttmp6, 0x4000c
	s_and_b32 s5, ttmp6, 15
	s_add_co_i32 s4, s4, 1
	s_getreg_b32 s6, hwreg(HW_REG_IB_STS2, 6, 4)
	s_mul_i32 s4, ttmp9, s4
	v_mul_u32_u24_e32 v12, 10, v0
	s_add_co_i32 s4, s5, s4
	s_cmp_eq_u32 s6, 0
	s_mov_b32 s5, 0
	s_cselect_b32 s4, ttmp9, s4
	s_delay_alu instid0(SALU_CYCLE_1)
	s_mulk_i32 s4, 0xa00
	s_wait_kmcnt 0x0
	s_add_nc_u64 s[8:9], s[0:1], s[4:5]
	s_lshl_b64 s[0:1], s[4:5], 2
	global_load_b64 v[8:9], v12, s[8:9]
	v_lshlrev_b32_e32 v13, 2, v12
	s_add_nc_u64 s[10:11], s[2:3], s[0:1]
	s_wait_loadcnt 0x0
	v_lshrrev_b32_e32 v19, 8, v9
	s_clause 0x1
	global_load_b128 v[0:3], v13, s[10:11]
	global_load_b128 v[4:7], v13, s[10:11] offset:16
	global_load_u16 v14, v12, s[8:9] offset:8
	global_load_b64 v[10:11], v13, s[10:11] offset:32
	v_dual_lshrrev_b32 v15, 8, v8 :: v_dual_lshrrev_b32 v17, 16, v8
	v_and_b32_e32 v18, 0xff, v8
	v_perm_b32 v16, 0, v8, 0xc0c0001
	v_and_b32_e32 v22, 0xff, v9
	s_delay_alu instid0(VALU_DEP_4)
	v_and_b32_e32 v15, 0xff, v15
	v_perm_b32 v21, 0, v17, 0xc0c0001
	v_lshrrev_b32_e32 v20, 24, v8
	v_and_b32_e32 v19, 0xff, v19
	v_and_b32_e32 v17, 0xff, v17
	v_cmp_lt_u16_e32 vcc_lo, v15, v18
	v_perm_b32 v18, v9, v9, 0x7060405
	s_delay_alu instid0(VALU_DEP_4) | instskip(SKIP_2) | instid1(VALU_DEP_2)
	v_cmp_lt_u16_e64 s0, v19, v22
	v_dual_cndmask_b32 v15, v8, v16 :: v_dual_lshlrev_b32 v16, 16, v21
	v_cmp_lt_u16_e64 s1, v20, v17
	v_bfi_b32 v8, 0xffff, v15, v8
	s_delay_alu instid0(VALU_DEP_3) | instskip(NEXT) | instid1(VALU_DEP_1)
	v_and_or_b32 v15, 0xffff, v15, v16
	v_dual_cndmask_b32 v8, v8, v15, s1 :: v_dual_cndmask_b32 v9, v9, v18, s0
	s_delay_alu instid0(VALU_DEP_1) | instskip(SKIP_1) | instid1(VALU_DEP_2)
	v_dual_lshrrev_b32 v18, 16, v8 :: v_dual_lshrrev_b32 v15, 16, v9
	v_dual_lshrrev_b32 v19, 8, v8 :: v_dual_lshrrev_b32 v21, 24, v9
	v_and_b32_e32 v18, 0xff, v18
	s_delay_alu instid0(VALU_DEP_3) | instskip(NEXT) | instid1(VALU_DEP_3)
	v_and_b32_e32 v15, 0xff, v15
	v_and_b32_e32 v19, 0xff, v19
	s_delay_alu instid0(VALU_DEP_1)
	v_cmp_lt_u16_e64 s2, v18, v19
	s_wait_loadcnt 0x3
	v_cndmask_b32_e32 v20, v1, v0, vcc_lo
	s_wait_loadcnt 0x2
	v_dual_cndmask_b32 v17, v5, v4, s0 :: v_dual_cndmask_b32 v16, v3, v2, s1
	v_cndmask_b32_e64 v2, v2, v3, s1
	v_perm_b32 v3, v9, v9, 0x6070504
	v_cmp_lt_u16_e64 s1, v21, v15
	v_perm_b32 v15, v8, v8, 0x7050604
	s_wait_loadcnt 0x1
	v_and_b32_e32 v23, 0xff, v14
	s_delay_alu instid0(VALU_DEP_3) | instskip(SKIP_3) | instid1(VALU_DEP_3)
	v_dual_cndmask_b32 v4, v4, v5, s0 :: v_dual_cndmask_b32 v18, v7, v6, s1
	v_dual_cndmask_b32 v3, v9, v3, s1 :: v_dual_cndmask_b32 v9, v2, v20, s2
	v_cndmask_b32_e64 v8, v8, v15, s2
	v_cndmask_b32_e64 v2, v20, v2, s2
	v_and_b32_e32 v15, 0xff, v3
	s_delay_alu instid0(VALU_DEP_3) | instskip(SKIP_1) | instid1(VALU_DEP_2)
	v_lshrrev_b32_e32 v19, 24, v8
	v_perm_b32 v5, v8, v3, 0x3020107
	v_cmp_lt_u16_e64 s0, v15, v19
	v_lshlrev_b16 v19, 8, v3
	s_delay_alu instid0(VALU_DEP_2) | instskip(NEXT) | instid1(VALU_DEP_4)
	v_perm_b32 v15, s0, v14, 0x5040100
	v_dual_cndmask_b32 v3, v3, v5, s0 :: v_dual_lshrrev_b32 v21, 16, v8
	v_cndmask_b32_e64 v22, v4, v16, s0
	v_perm_b32 v14, 0, v14, 0xc0c0001
	s_delay_alu instid0(VALU_DEP_4) | instskip(NEXT) | instid1(VALU_DEP_4)
	v_dual_lshrrev_b32 v5, 8, v15 :: v_dual_cndmask_b32 v4, v16, v4, s0
	v_bitop3_b16 v19, v21, v19, 0xff bitop3:0xec
	v_lshrrev_b32_e32 v21, 16, v3
	s_delay_alu instid0(VALU_DEP_3) | instskip(NEXT) | instid1(VALU_DEP_2)
	v_and_b32_e32 v5, 0xff, v5
	v_and_b32_e32 v21, 0xff, v21
	s_delay_alu instid0(VALU_DEP_2)
	v_cmp_lt_u16_e64 s3, v5, v23
	v_lshrrev_b32_e32 v24, 8, v3
	v_lshlrev_b32_e32 v19, 16, v19
	v_cndmask_b32_e64 v5, v6, v7, s1
	v_perm_b32 v7, v3, v3, 0x7050604
	v_cndmask_b32_e64 v14, v15, v14, s3
	s_delay_alu instid0(VALU_DEP_4) | instskip(SKIP_3) | instid1(VALU_DEP_3)
	v_and_or_b32 v6, 0xffff, v8, v19
	s_wait_loadcnt 0x0
	v_cndmask_b32_e64 v19, v11, v10, s3
	v_and_b32_e32 v24, 0xff, v24
	v_dual_cndmask_b32 v10, v10, v11, s3 :: v_dual_cndmask_b32 v6, v8, v6, s0
	v_cndmask_b32_e32 v0, v0, v1, vcc_lo
	s_delay_alu instid0(VALU_DEP_3) | instskip(SKIP_1) | instid1(VALU_DEP_4)
	v_cmp_lt_u16_e64 s1, v21, v24
	v_and_b32_e32 v24, 0xff, v14
	v_lshrrev_b32_e32 v1, 8, v6
	v_perm_b32 v21, 0, v6, 0xc0c0001
	s_delay_alu instid0(VALU_DEP_4) | instskip(SKIP_3) | instid1(VALU_DEP_4)
	v_dual_cndmask_b32 v8, v5, v17, s1 :: v_dual_cndmask_b32 v3, v3, v7, s1
	v_lshlrev_b16 v7, 8, v14
	v_and_b32_e32 v23, 0xff, v6
	v_and_b32_e32 v1, 0xff, v1
	v_dual_cndmask_b32 v5, v17, v5, s1 :: v_dual_lshrrev_b32 v15, 16, v3
	s_delay_alu instid0(VALU_DEP_2) | instskip(SKIP_1) | instid1(VALU_DEP_3)
	v_cmp_lt_u16_e32 vcc_lo, v1, v23
	v_lshrrev_b32_e32 v1, 24, v3
	v_bitop3_b16 v7, v15, v7, 0xff bitop3:0xec
	v_and_or_b32 v15, 0xffff0000, v6, v21
	v_cndmask_b32_e32 v11, v0, v2, vcc_lo
	s_delay_alu instid0(VALU_DEP_4) | instskip(SKIP_1) | instid1(VALU_DEP_4)
	v_cmp_lt_u16_e64 s2, v24, v1
	v_bitop3_b16 v1, v1, v14, 0xff00 bitop3:0xf8
	v_cndmask_b32_e32 v6, v6, v15, vcc_lo
	v_dual_cndmask_b32 v0, v2, v0 :: v_dual_lshlrev_b32 v7, 16, v7
	s_delay_alu instid0(VALU_DEP_3) | instskip(NEXT) | instid1(VALU_DEP_3)
	v_and_b32_e32 v1, 0xffff, v1
	v_lshrrev_b32_e32 v15, 16, v6
	s_delay_alu instid0(VALU_DEP_3) | instskip(SKIP_1) | instid1(VALU_DEP_2)
	v_and_or_b32 v7, 0xffff, v3, v7
	v_cndmask_b32_e64 v20, v10, v18, s2
	v_dual_lshrrev_b32 v16, 24, v6 :: v_dual_cndmask_b32 v3, v3, v7, s2
	s_delay_alu instid0(VALU_DEP_4) | instskip(SKIP_1) | instid1(VALU_DEP_3)
	v_perm_b32 v7, 0, v15, 0xc0c0001
	v_and_b32_e32 v15, 0xff, v15
	v_lshrrev_b32_e32 v21, 8, v3
	v_and_b32_e32 v23, 0xff, v3
	v_perm_b32 v17, v3, v3, 0x7060405
	s_delay_alu instid0(VALU_DEP_4) | instskip(SKIP_2) | instid1(VALU_DEP_3)
	v_cmp_lt_u16_e64 s1, v16, v15
	v_lshlrev_b32_e32 v7, 16, v7
	v_and_b32_e32 v21, 0xff, v21
	v_cndmask_b32_e64 v15, v4, v9, s1
	s_delay_alu instid0(VALU_DEP_3) | instskip(NEXT) | instid1(VALU_DEP_3)
	v_and_or_b32 v7, 0xffff, v6, v7
	v_cmp_lt_u16_e64 s0, v21, v23
	s_delay_alu instid0(VALU_DEP_1) | instskip(NEXT) | instid1(VALU_DEP_1)
	v_dual_cndmask_b32 v16, v5, v22, s0 :: v_dual_cndmask_b32 v3, v3, v17, s0
	v_dual_cndmask_b32 v10, v18, v10, s2 :: v_dual_lshrrev_b32 v18, 24, v3
	v_perm_b32 v24, v3, v3, 0x6070504
	v_cndmask_b32_e64 v6, v6, v7, s1
	v_lshrrev_b32_e32 v7, 16, v3
	s_delay_alu instid0(VALU_DEP_1) | instskip(NEXT) | instid1(VALU_DEP_1)
	v_and_b32_e32 v7, 0xff, v7
	v_cmp_lt_u16_e64 s3, v18, v7
	s_delay_alu instid0(VALU_DEP_1) | instskip(SKIP_2) | instid1(VALU_DEP_3)
	v_dual_cndmask_b32 v3, v3, v24, s3 :: v_dual_lshrrev_b32 v17, 16, v6
	v_perm_b32 v23, v6, v6, 0x7050604
	v_dual_lshrrev_b32 v21, 8, v6 :: v_dual_cndmask_b32 v1, v14, v1, s2
	v_lshlrev_b16 v18, 8, v3
	s_delay_alu instid0(VALU_DEP_4) | instskip(NEXT) | instid1(VALU_DEP_3)
	v_and_b32_e32 v17, 0xff, v17
	v_and_b32_e32 v21, 0xff, v21
	s_delay_alu instid0(VALU_DEP_1) | instskip(SKIP_1) | instid1(VALU_DEP_2)
	v_cmp_lt_u16_e64 s4, v17, v21
	v_and_b32_e32 v21, 0xff, v3
	v_cndmask_b32_e64 v6, v6, v23, s4
	s_delay_alu instid0(VALU_DEP_1) | instskip(SKIP_1) | instid1(VALU_DEP_2)
	v_dual_cndmask_b32 v7, v10, v8, s3 :: v_dual_lshrrev_b32 v17, 16, v6
	v_perm_b32 v14, v6, v3, 0x3020107
	v_bitop3_b16 v17, v17, v18, 0xff bitop3:0xec
	s_delay_alu instid0(VALU_DEP_1) | instskip(NEXT) | instid1(VALU_DEP_1)
	v_dual_lshrrev_b32 v18, 24, v6 :: v_dual_lshlrev_b32 v17, 16, v17
	v_cmp_lt_u16_e64 s2, v21, v18
	s_delay_alu instid0(VALU_DEP_2) | instskip(NEXT) | instid1(VALU_DEP_2)
	v_and_or_b32 v17, 0xffff, v6, v17
	v_dual_cndmask_b32 v3, v3, v14, s2 :: v_dual_lshrrev_b32 v18, 8, v1
	v_and_b32_e32 v14, 0xff, v1
	v_perm_b32 v23, 0, v1, 0xc0c0001
	s_delay_alu instid0(VALU_DEP_3) | instskip(NEXT) | instid1(VALU_DEP_4)
	v_dual_cndmask_b32 v6, v6, v17, s2 :: v_dual_lshrrev_b32 v21, 8, v3
	v_and_b32_e32 v17, 0xff, v18
	v_dual_lshrrev_b32 v18, 16, v3 :: v_dual_cndmask_b32 v2, v9, v4, s1
	s_delay_alu instid0(VALU_DEP_3) | instskip(NEXT) | instid1(VALU_DEP_3)
	v_lshrrev_b32_e32 v4, 8, v6
	v_cmp_lt_u16_e64 s5, v17, v14
	s_delay_alu instid0(VALU_DEP_3) | instskip(SKIP_4) | instid1(VALU_DEP_4)
	v_and_b32_e32 v14, 0xff, v18
	v_and_b32_e32 v17, 0xff, v21
	v_perm_b32 v18, v3, v3, 0x7050604
	v_and_b32_e32 v4, 0xff, v4
	v_dual_cndmask_b32 v21, v19, v20, s5 :: v_dual_cndmask_b32 v1, v1, v23, s5
	v_cmp_lt_u16_e64 s6, v14, v17
	v_perm_b32 v17, 0, v6, 0xc0c0001
	s_delay_alu instid0(VALU_DEP_3) | instskip(NEXT) | instid1(VALU_DEP_3)
	v_lshlrev_b16 v9, 8, v1
	v_cndmask_b32_e64 v3, v3, v18, s6
	v_and_b32_e32 v18, 0xff, v6
	v_and_b32_e32 v23, 0xff, v1
	v_and_or_b32 v17, 0xffff0000, v6, v17
	s_delay_alu instid0(VALU_DEP_4) | instskip(NEXT) | instid1(VALU_DEP_4)
	v_lshrrev_b32_e32 v14, 16, v3
	v_cmp_lt_u16_e32 vcc_lo, v4, v18
	v_lshrrev_b32_e32 v4, 24, v3
	s_delay_alu instid0(VALU_DEP_3) | instskip(SKIP_1) | instid1(VALU_DEP_3)
	v_bitop3_b16 v9, v14, v9, 0xff bitop3:0xec
	v_dual_cndmask_b32 v14, v0, v2, s4 :: v_dual_cndmask_b32 v6, v6, v17, vcc_lo
	v_cmp_lt_u16_e64 s1, v23, v4
	s_delay_alu instid0(VALU_DEP_3) | instskip(NEXT) | instid1(VALU_DEP_3)
	v_dual_cndmask_b32 v0, v2, v0, s4 :: v_dual_lshlrev_b32 v9, 16, v9
	v_dual_cndmask_b32 v18, v20, v19, s5 :: v_dual_cndmask_b32 v19, v11, v14, vcc_lo
	v_dual_cndmask_b32 v2, v8, v10, s3 :: v_dual_cndmask_b32 v5, v22, v5, s0
	v_lshrrev_b32_e32 v17, 16, v6
	s_delay_alu instid0(VALU_DEP_4) | instskip(NEXT) | instid1(VALU_DEP_4)
	v_and_or_b32 v9, 0xffff, v3, v9
	v_dual_cndmask_b32 v20, v18, v7, s1 :: v_dual_cndmask_b32 v7, v7, v18, s1
	v_bitop3_b16 v4, v4, v1, 0xff00 bitop3:0xf8
	s_delay_alu instid0(VALU_DEP_4) | instskip(NEXT) | instid1(VALU_DEP_4)
	v_perm_b32 v8, 0, v17, 0xc0c0001
	v_dual_cndmask_b32 v3, v3, v9, s1 :: v_dual_cndmask_b32 v9, v5, v15, s2
	v_dual_cndmask_b32 v5, v15, v5, s2 :: v_dual_lshrrev_b32 v15, 24, v6
	s_delay_alu instid0(VALU_DEP_2) | instskip(SKIP_3) | instid1(VALU_DEP_4)
	v_dual_lshlrev_b32 v8, 16, v8 :: v_dual_lshrrev_b32 v10, 8, v3
	v_and_b32_e32 v22, 0xff, v3
	v_and_b32_e32 v17, 0xff, v17
	v_perm_b32 v24, v3, v3, 0x7060405
	v_and_or_b32 v8, 0xffff, v6, v8
	v_and_b32_e32 v10, 0xff, v10
	v_and_b32_e32 v4, 0xffff, v4
	v_cmp_lt_u16_e64 s2, v15, v17
	v_cndmask_b32_e64 v23, v16, v2, s6
	s_delay_alu instid0(VALU_DEP_4) | instskip(NEXT) | instid1(VALU_DEP_4)
	v_cmp_lt_u16_e64 s0, v10, v22
	v_cndmask_b32_e64 v1, v1, v4, s1
	s_delay_alu instid0(VALU_DEP_4) | instskip(SKIP_1) | instid1(VALU_DEP_4)
	v_cndmask_b32_e64 v10, v5, v0, s2
	v_dual_cndmask_b32 v6, v6, v8, s2 :: v_dual_cndmask_b32 v0, v0, v5, s2
	v_cndmask_b32_e64 v15, v23, v9, s0
	v_cndmask_b32_e64 v3, v3, v24, s0
	s_delay_alu instid0(VALU_DEP_3) | instskip(SKIP_2) | instid1(VALU_DEP_4)
	v_dual_cndmask_b32 v2, v2, v16, s6 :: v_dual_lshrrev_b32 v16, 16, v6
	v_lshrrev_b32_e32 v17, 8, v6
	v_perm_b32 v22, v6, v6, 0x7050604
	v_dual_lshrrev_b32 v8, 16, v3 :: v_dual_lshrrev_b32 v18, 24, v3
	s_delay_alu instid0(VALU_DEP_4) | instskip(NEXT) | instid1(VALU_DEP_4)
	v_and_b32_e32 v16, 0xff, v16
	v_and_b32_e32 v17, 0xff, v17
	v_perm_b32 v24, v3, v3, 0x6070504
	s_delay_alu instid0(VALU_DEP_4) | instskip(NEXT) | instid1(VALU_DEP_3)
	v_and_b32_e32 v8, 0xff, v8
	v_cmp_lt_u16_e64 s4, v16, v17
	s_delay_alu instid0(VALU_DEP_2) | instskip(NEXT) | instid1(VALU_DEP_2)
	v_cmp_lt_u16_e64 s3, v18, v8
	v_cndmask_b32_e64 v6, v6, v22, s4
	v_perm_b32 v22, 0, v1, 0xc0c0001
	s_delay_alu instid0(VALU_DEP_2) | instskip(NEXT) | instid1(VALU_DEP_1)
	v_dual_cndmask_b32 v3, v3, v24, s3 :: v_dual_lshrrev_b32 v16, 16, v6
	v_lshlrev_b16 v17, 8, v3
	v_and_b32_e32 v18, 0xff, v3
	v_perm_b32 v4, v6, v3, 0x3020107
	s_delay_alu instid0(VALU_DEP_3) | instskip(NEXT) | instid1(VALU_DEP_1)
	v_bitop3_b16 v16, v16, v17, 0xff bitop3:0xec
	v_dual_lshrrev_b32 v17, 24, v6 :: v_dual_lshlrev_b32 v16, 16, v16
	v_cndmask_b32_e64 v8, v7, v2, s3
	s_delay_alu instid0(VALU_DEP_2) | instskip(SKIP_1) | instid1(VALU_DEP_4)
	v_cmp_lt_u16_e64 s1, v18, v17
	v_cndmask_b32_e64 v2, v2, v7, s3
	v_and_or_b32 v16, 0xffff, v6, v16
	s_delay_alu instid0(VALU_DEP_3) | instskip(SKIP_1) | instid1(VALU_DEP_3)
	v_dual_lshrrev_b32 v17, 8, v1 :: v_dual_cndmask_b32 v3, v3, v4, s1
	v_and_b32_e32 v4, 0xff, v1
	v_cndmask_b32_e64 v6, v6, v16, s1
	s_delay_alu instid0(VALU_DEP_3) | instskip(NEXT) | instid1(VALU_DEP_1)
	v_and_b32_e32 v16, 0xff, v17
	v_cmp_lt_u16_e64 s5, v16, v4
	s_delay_alu instid0(VALU_DEP_1) | instskip(SKIP_1) | instid1(VALU_DEP_2)
	v_dual_cndmask_b32 v1, v1, v22, s5 :: v_dual_lshrrev_b32 v17, 16, v3
	v_lshrrev_b32_e32 v18, 8, v3
	v_and_b32_e32 v22, 0xff, v1
	s_delay_alu instid0(VALU_DEP_3) | instskip(NEXT) | instid1(VALU_DEP_3)
	v_and_b32_e32 v4, 0xff, v17
	v_and_b32_e32 v16, 0xff, v18
	v_perm_b32 v17, v3, v3, 0x7050604
	s_delay_alu instid0(VALU_DEP_2) | instskip(SKIP_3) | instid1(VALU_DEP_4)
	v_cmp_lt_u16_e64 s6, v4, v16
	v_dual_cndmask_b32 v18, v21, v20, s5 :: v_dual_cndmask_b32 v4, v14, v11, vcc_lo
	v_lshlrev_b16 v11, 8, v1
	v_perm_b32 v16, 0, v6, 0xc0c0001
	v_dual_cndmask_b32 v3, v3, v17, s6 :: v_dual_lshrrev_b32 v5, 8, v6
	v_and_b32_e32 v17, 0xff, v6
	s_delay_alu instid0(VALU_DEP_3) | instskip(NEXT) | instid1(VALU_DEP_3)
	v_and_or_b32 v16, 0xffff0000, v6, v16
	v_lshrrev_b32_e32 v14, 16, v3
	s_delay_alu instid0(VALU_DEP_4) | instskip(NEXT) | instid1(VALU_DEP_2)
	v_and_b32_e32 v5, 0xff, v5
	v_bitop3_b16 v11, v14, v11, 0xff bitop3:0xec
	v_cndmask_b32_e64 v14, v4, v0, s4
	s_delay_alu instid0(VALU_DEP_3) | instskip(SKIP_1) | instid1(VALU_DEP_4)
	v_cmp_lt_u16_e32 vcc_lo, v5, v17
	v_dual_lshrrev_b32 v5, 24, v3 :: v_dual_cndmask_b32 v17, v20, v21, s5
	v_dual_lshlrev_b32 v11, 16, v11 :: v_dual_cndmask_b32 v0, v0, v4, s4
	s_delay_alu instid0(VALU_DEP_4) | instskip(NEXT) | instid1(VALU_DEP_3)
	v_dual_cndmask_b32 v20, v19, v14, vcc_lo :: v_dual_cndmask_b32 v6, v6, v16, vcc_lo
	v_cmp_lt_u16_e64 s2, v22, v5
	s_delay_alu instid0(VALU_DEP_3) | instskip(SKIP_1) | instid1(VALU_DEP_3)
	v_and_or_b32 v11, 0xffff, v3, v11
	v_dual_cndmask_b32 v9, v9, v23, s0 :: v_dual_cndmask_b32 v23, v15, v2, s6
	v_dual_lshrrev_b32 v16, 16, v6 :: v_dual_cndmask_b32 v21, v17, v8, s2
	s_delay_alu instid0(VALU_DEP_2) | instskip(SKIP_1) | instid1(VALU_DEP_3)
	v_dual_cndmask_b32 v3, v3, v11, s2 :: v_dual_cndmask_b32 v7, v9, v10, s1
	v_dual_cndmask_b32 v9, v10, v9, s1 :: v_dual_lshrrev_b32 v10, 24, v6
	v_perm_b32 v4, 0, v16, 0xc0c0001
	s_delay_alu instid0(VALU_DEP_3)
	v_lshrrev_b32_e32 v11, 8, v3
	v_and_b32_e32 v22, 0xff, v3
	v_and_b32_e32 v16, 0xff, v16
	v_perm_b32 v24, v3, v3, 0x7060405
	v_lshlrev_b32_e32 v4, 16, v4
	v_and_b32_e32 v11, 0xff, v11
	v_cndmask_b32_e64 v2, v2, v15, s6
	v_cmp_lt_u16_e64 s1, v10, v16
	v_bitop3_b16 v5, v5, v1, 0xff00 bitop3:0xf8
	v_and_or_b32 v4, 0xffff, v6, v4
	v_cmp_lt_u16_e64 s0, v11, v22
	s_delay_alu instid0(VALU_DEP_4) | instskip(NEXT) | instid1(VALU_DEP_4)
	v_cndmask_b32_e64 v10, v9, v0, s1
	v_and_b32_e32 v5, 0xffff, v5
	s_delay_alu instid0(VALU_DEP_3) | instskip(SKIP_3) | instid1(VALU_DEP_3)
	v_cndmask_b32_e64 v3, v3, v24, s0
	v_dual_cndmask_b32 v4, v6, v4, s1 :: v_dual_cndmask_b32 v8, v8, v17, s2
	v_cndmask_b32_e64 v11, v23, v7, s0
	v_cndmask_b32_e64 v7, v7, v23, s0
	v_dual_lshrrev_b32 v6, 16, v3 :: v_dual_lshrrev_b32 v15, 16, v4
	v_dual_lshrrev_b32 v16, 8, v4 :: v_dual_lshrrev_b32 v17, 24, v3
	v_perm_b32 v22, v4, v4, 0x7050604
	s_delay_alu instid0(VALU_DEP_3) | instskip(NEXT) | instid1(VALU_DEP_4)
	v_and_b32_e32 v6, 0xff, v6
	v_and_b32_e32 v15, 0xff, v15
	s_delay_alu instid0(VALU_DEP_4) | instskip(SKIP_1) | instid1(VALU_DEP_4)
	v_and_b32_e32 v16, 0xff, v16
	v_perm_b32 v24, v3, v3, 0x6070504
	v_cmp_lt_u16_e64 s3, v17, v6
	s_delay_alu instid0(VALU_DEP_3) | instskip(NEXT) | instid1(VALU_DEP_1)
	v_cmp_lt_u16_e64 s4, v15, v16
	v_dual_cndmask_b32 v3, v3, v24, s3 :: v_dual_cndmask_b32 v4, v4, v22, s4
	v_cndmask_b32_e64 v6, v8, v2, s3
	s_delay_alu instid0(VALU_DEP_2) | instskip(SKIP_1) | instid1(VALU_DEP_4)
	v_lshlrev_b16 v16, 8, v3
	v_and_b32_e32 v17, 0xff, v3
	v_lshrrev_b32_e32 v15, 16, v4
	s_delay_alu instid0(VALU_DEP_1) | instskip(NEXT) | instid1(VALU_DEP_1)
	v_bitop3_b16 v15, v15, v16, 0xff bitop3:0xec
	v_dual_lshrrev_b32 v16, 24, v4 :: v_dual_lshlrev_b32 v15, 16, v15
	s_delay_alu instid0(VALU_DEP_1) | instskip(SKIP_2) | instid1(VALU_DEP_4)
	v_and_or_b32 v15, 0xffff, v4, v15
	v_cndmask_b32_e64 v1, v1, v5, s2
	v_perm_b32 v5, v4, v3, 0x3020107
	v_cmp_lt_u16_e64 s2, v17, v16
	s_delay_alu instid0(VALU_DEP_1) | instskip(NEXT) | instid1(VALU_DEP_4)
	v_dual_cndmask_b32 v2, v2, v8, s3 :: v_dual_cndmask_b32 v4, v4, v15, s2
	v_perm_b32 v22, 0, v1, 0xc0c0001
	s_delay_alu instid0(VALU_DEP_4) | instskip(SKIP_3) | instid1(VALU_DEP_4)
	v_cndmask_b32_e64 v3, v3, v5, s2
	v_lshrrev_b32_e32 v16, 8, v1
	v_and_b32_e32 v5, 0xff, v1
	v_dual_cndmask_b32 v9, v0, v9, s1 :: v_dual_lshrrev_b32 v0, 8, v4
	v_lshrrev_b32_e32 v17, 8, v3
	s_delay_alu instid0(VALU_DEP_4) | instskip(NEXT) | instid1(VALU_DEP_3)
	v_and_b32_e32 v15, 0xff, v16
	v_and_b32_e32 v0, 0xff, v0
	s_delay_alu instid0(VALU_DEP_2) | instskip(NEXT) | instid1(VALU_DEP_4)
	v_cmp_lt_u16_e64 s5, v15, v5
	v_and_b32_e32 v15, 0xff, v17
	s_delay_alu instid0(VALU_DEP_2) | instskip(SKIP_1) | instid1(VALU_DEP_2)
	v_dual_cndmask_b32 v1, v1, v22, s5 :: v_dual_lshrrev_b32 v16, 16, v3
	v_cndmask_b32_e64 v17, v18, v21, s5
	v_and_b32_e32 v22, 0xff, v1
	s_delay_alu instid0(VALU_DEP_3) | instskip(SKIP_1) | instid1(VALU_DEP_2)
	v_and_b32_e32 v5, 0xff, v16
	v_perm_b32 v16, v3, v3, 0x7050604
	v_cmp_lt_u16_e64 s6, v5, v15
	v_cndmask_b32_e32 v5, v14, v19, vcc_lo
	v_lshlrev_b16 v14, 8, v1
	v_and_b32_e32 v19, 0xff, v4
	s_delay_alu instid0(VALU_DEP_4) | instskip(SKIP_1) | instid1(VALU_DEP_3)
	v_cndmask_b32_e64 v3, v3, v16, s6
	v_perm_b32 v16, 0, v4, 0xc0c0001
	v_cmp_lt_u16_e32 vcc_lo, v0, v19
	s_delay_alu instid0(VALU_DEP_3) | instskip(NEXT) | instid1(VALU_DEP_3)
	v_dual_lshrrev_b32 v15, 16, v3 :: v_dual_lshrrev_b32 v19, 24, v3
	v_and_or_b32 v16, 0xffff0000, v4, v16
	s_delay_alu instid0(VALU_DEP_2) | instskip(NEXT) | instid1(VALU_DEP_2)
	v_bitop3_b16 v14, v15, v14, 0xff bitop3:0xec
	v_dual_cndmask_b32 v15, v5, v9, s4 :: v_dual_cndmask_b32 v4, v4, v16, vcc_lo
	s_delay_alu instid0(VALU_DEP_4) | instskip(NEXT) | instid1(VALU_DEP_3)
	v_cmp_lt_u16_e64 s1, v22, v19
	v_dual_cndmask_b32 v5, v9, v5, s4 :: v_dual_lshlrev_b32 v14, 16, v14
	s_delay_alu instid0(VALU_DEP_3) | instskip(NEXT) | instid1(VALU_DEP_4)
	v_dual_cndmask_b32 v18, v21, v18, s5 :: v_dual_cndmask_b32 v0, v20, v15, vcc_lo
	v_lshrrev_b32_e32 v16, 16, v4
	v_cndmask_b32_e32 v15, v15, v20, vcc_lo
	s_delay_alu instid0(VALU_DEP_4) | instskip(NEXT) | instid1(VALU_DEP_4)
	v_and_or_b32 v14, 0xffff, v3, v14
	v_cndmask_b32_e64 v21, v18, v6, s1
	v_cndmask_b32_e64 v6, v6, v18, s1
	v_perm_b32 v8, 0, v16, 0xc0c0001
	v_and_b32_e32 v16, 0xff, v16
	v_cndmask_b32_e64 v3, v3, v14, s1
	v_dual_cndmask_b32 v14, v7, v10, s2 :: v_dual_cndmask_b32 v7, v10, v7, s2
	s_delay_alu instid0(VALU_DEP_4) | instskip(NEXT) | instid1(VALU_DEP_3)
	v_lshlrev_b32_e32 v8, 16, v8
	v_dual_lshrrev_b32 v10, 24, v4 :: v_dual_lshrrev_b32 v9, 8, v3
	v_and_b32_e32 v22, 0xff, v3
	v_perm_b32 v24, v3, v3, 0x7060405
	s_delay_alu instid0(VALU_DEP_4) | instskip(NEXT) | instid1(VALU_DEP_4)
	v_and_or_b32 v8, 0xffff, v4, v8
	v_cmp_lt_u16_e64 s2, v10, v16
	v_and_b32_e32 v9, 0xff, v9
	s_delay_alu instid0(VALU_DEP_2) | instskip(NEXT) | instid1(VALU_DEP_2)
	v_dual_cndmask_b32 v23, v11, v2, s6 :: v_dual_cndmask_b32 v4, v4, v8, s2
	v_cmp_lt_u16_e64 s0, v9, v22
	v_dual_cndmask_b32 v10, v7, v5, s2 :: v_dual_cndmask_b32 v8, v2, v11, s6
	v_bitop3_b16 v2, v19, v1, 0xff00 bitop3:0xf8
	s_delay_alu instid0(VALU_DEP_4) | instskip(NEXT) | instid1(VALU_DEP_4)
	v_dual_lshrrev_b32 v11, 16, v4 :: v_dual_lshrrev_b32 v19, 8, v4
	v_cndmask_b32_e64 v3, v3, v24, s0
	v_cndmask_b32_e64 v16, v23, v14, s0
	v_perm_b32 v22, v4, v4, 0x7050604
	s_delay_alu instid0(VALU_DEP_4)
	v_and_b32_e32 v11, 0xff, v11
	v_and_b32_e32 v19, 0xff, v19
	v_lshrrev_b32_e32 v9, 16, v3
	v_perm_b32 v24, v3, v3, 0x6070504
	v_and_b32_e32 v2, 0xffff, v2
	v_cndmask_b32_e64 v5, v5, v7, s2
	v_cmp_lt_u16_e64 s4, v11, v19
	v_lshrrev_b32_e32 v18, 24, v3
	v_and_b32_e32 v9, 0xff, v9
	v_cndmask_b32_e64 v1, v1, v2, s1
	s_delay_alu instid0(VALU_DEP_4) | instskip(NEXT) | instid1(VALU_DEP_3)
	v_cndmask_b32_e64 v4, v4, v22, s4
	v_cmp_lt_u16_e64 s3, v18, v9
	s_delay_alu instid0(VALU_DEP_3) | instskip(SKIP_1) | instid1(VALU_DEP_4)
	v_lshrrev_b32_e32 v19, 8, v1
	v_perm_b32 v7, 0, v1, 0xc0c0001
	v_lshrrev_b32_e32 v2, 24, v4
	s_delay_alu instid0(VALU_DEP_4) | instskip(SKIP_1) | instid1(VALU_DEP_1)
	v_cndmask_b32_e64 v18, v6, v8, s3
	v_cndmask_b32_e64 v3, v3, v24, s3
	v_and_b32_e32 v9, 0xff, v3
	v_perm_b32 v11, v4, v3, 0x3020107
	s_delay_alu instid0(VALU_DEP_2) | instskip(SKIP_1) | instid1(VALU_DEP_3)
	v_cmp_lt_u16_e32 vcc_lo, v9, v2
	v_and_b32_e32 v9, 0xff, v1
	v_cndmask_b32_e32 v2, v3, v11, vcc_lo
	v_and_b32_e32 v11, 0xff, v19
	v_lshlrev_b16 v3, 8, v3
	s_delay_alu instid0(VALU_DEP_2) | instskip(NEXT) | instid1(VALU_DEP_1)
	v_cmp_lt_u16_e64 s1, v11, v9
	v_dual_lshrrev_b32 v11, 16, v4 :: v_dual_cndmask_b32 v9, v17, v21, s1
	v_dual_lshrrev_b32 v19, 16, v2 :: v_dual_lshrrev_b32 v20, 8, v2
	v_perm_b32 v22, v2, v2, 0x7050604
	v_cndmask_b32_e64 v17, v21, v17, s1
	v_cndmask_b32_e64 v7, v1, v7, s1
	s_delay_alu instid0(VALU_DEP_4) | instskip(SKIP_3) | instid1(VALU_DEP_3)
	v_and_b32_e32 v19, 0xff, v19
	v_and_b32_e32 v20, 0xff, v20
	v_bitop3_b16 v1, v11, v3, 0xff bitop3:0xec
	v_cndmask_b32_e64 v3, v14, v23, s0
	v_cmp_lt_u16_e64 s1, v19, v20
	s_delay_alu instid0(VALU_DEP_3) | instskip(SKIP_2) | instid1(VALU_DEP_4)
	v_lshlrev_b32_e32 v1, 16, v1
	v_lshlrev_b16 v14, 8, v7
	v_and_b32_e32 v19, 0xff, v7
	v_dual_cndmask_b32 v11, v2, v22, s1 :: v_dual_cndmask_b32 v2, v5, v15, s4
	s_delay_alu instid0(VALU_DEP_4) | instskip(SKIP_1) | instid1(VALU_DEP_3)
	v_and_or_b32 v22, 0xffff, v4, v1
	v_dual_cndmask_b32 v1, v15, v5, s4 :: v_dual_cndmask_b32 v15, v8, v6, s3
	v_dual_lshrrev_b32 v20, 16, v11 :: v_dual_lshrrev_b32 v21, 24, v11
	s_delay_alu instid0(VALU_DEP_1) | instskip(NEXT) | instid1(VALU_DEP_2)
	v_bitop3_b16 v5, v20, v14, 0xff bitop3:0xec
	v_bitop3_b16 v14, v21, v7, 0xff00 bitop3:0xf8
	v_cndmask_b32_e32 v20, v4, v22, vcc_lo
	v_cmp_lt_u16_e64 s0, v19, v21
	s_delay_alu instid0(VALU_DEP_4) | instskip(NEXT) | instid1(VALU_DEP_4)
	v_lshlrev_b32_e32 v5, 16, v5
	v_and_b32_e32 v6, 0xffff, v14
	s_delay_alu instid0(VALU_DEP_4) | instskip(NEXT) | instid1(VALU_DEP_4)
	v_dual_cndmask_b32 v4, v3, v10, vcc_lo :: v_dual_lshrrev_b32 v14, 16, v20
	v_dual_cndmask_b32 v8, v17, v18, s0 :: v_dual_cndmask_b32 v3, v10, v3, vcc_lo
	s_delay_alu instid0(VALU_DEP_4) | instskip(NEXT) | instid1(VALU_DEP_4)
	v_and_or_b32 v5, 0xffff, v11, v5
	v_cndmask_b32_e64 v7, v7, v6, s0
	s_delay_alu instid0(VALU_DEP_4) | instskip(SKIP_1) | instid1(VALU_DEP_4)
	v_perm_b32 v10, v20, v14, 0x7000504
	v_cndmask_b32_e64 v6, v15, v16, s1
	v_dual_cndmask_b32 v11, v11, v5, s0 :: v_dual_cndmask_b32 v5, v16, v15, s1
	s_delay_alu instid0(VALU_DEP_4)
	v_perm_b32 v14, v7, v7, 0xc0c0104
	v_cndmask_b32_e64 v7, v18, v17, s0
	s_clause 0x1
	global_store_b64 v12, v[10:11], s[8:9]
	global_store_b16 v12, v14, s[8:9] offset:8
	s_clause 0x2
	global_store_b128 v13, v[0:3], s[10:11]
	global_store_b128 v13, v[4:7], s[10:11] offset:16
	global_store_b64 v13, v[8:9], s[10:11] offset:32
	s_endpgm
	.section	.rodata,"a",@progbits
	.p2align	6, 0x0
	.amdhsa_kernel _Z16sort_keys_valuesILj256ELj10EhiN10test_utils4lessEEvPT1_PT2_T3_
		.amdhsa_group_segment_fixed_size 0
		.amdhsa_private_segment_fixed_size 0
		.amdhsa_kernarg_size 20
		.amdhsa_user_sgpr_count 2
		.amdhsa_user_sgpr_dispatch_ptr 0
		.amdhsa_user_sgpr_queue_ptr 0
		.amdhsa_user_sgpr_kernarg_segment_ptr 1
		.amdhsa_user_sgpr_dispatch_id 0
		.amdhsa_user_sgpr_kernarg_preload_length 0
		.amdhsa_user_sgpr_kernarg_preload_offset 0
		.amdhsa_user_sgpr_private_segment_size 0
		.amdhsa_wavefront_size32 1
		.amdhsa_uses_dynamic_stack 0
		.amdhsa_enable_private_segment 0
		.amdhsa_system_sgpr_workgroup_id_x 1
		.amdhsa_system_sgpr_workgroup_id_y 0
		.amdhsa_system_sgpr_workgroup_id_z 0
		.amdhsa_system_sgpr_workgroup_info 0
		.amdhsa_system_vgpr_workitem_id 0
		.amdhsa_next_free_vgpr 25
		.amdhsa_next_free_sgpr 12
		.amdhsa_named_barrier_count 0
		.amdhsa_reserve_vcc 1
		.amdhsa_float_round_mode_32 0
		.amdhsa_float_round_mode_16_64 0
		.amdhsa_float_denorm_mode_32 3
		.amdhsa_float_denorm_mode_16_64 3
		.amdhsa_fp16_overflow 0
		.amdhsa_memory_ordered 1
		.amdhsa_forward_progress 1
		.amdhsa_inst_pref_size 32
		.amdhsa_round_robin_scheduling 0
		.amdhsa_exception_fp_ieee_invalid_op 0
		.amdhsa_exception_fp_denorm_src 0
		.amdhsa_exception_fp_ieee_div_zero 0
		.amdhsa_exception_fp_ieee_overflow 0
		.amdhsa_exception_fp_ieee_underflow 0
		.amdhsa_exception_fp_ieee_inexact 0
		.amdhsa_exception_int_div_zero 0
	.end_amdhsa_kernel
	.section	.text._Z16sort_keys_valuesILj256ELj10EhiN10test_utils4lessEEvPT1_PT2_T3_,"axG",@progbits,_Z16sort_keys_valuesILj256ELj10EhiN10test_utils4lessEEvPT1_PT2_T3_,comdat
.Lfunc_end19:
	.size	_Z16sort_keys_valuesILj256ELj10EhiN10test_utils4lessEEvPT1_PT2_T3_, .Lfunc_end19-_Z16sort_keys_valuesILj256ELj10EhiN10test_utils4lessEEvPT1_PT2_T3_
                                        ; -- End function
	.set _Z16sort_keys_valuesILj256ELj10EhiN10test_utils4lessEEvPT1_PT2_T3_.num_vgpr, 25
	.set _Z16sort_keys_valuesILj256ELj10EhiN10test_utils4lessEEvPT1_PT2_T3_.num_agpr, 0
	.set _Z16sort_keys_valuesILj256ELj10EhiN10test_utils4lessEEvPT1_PT2_T3_.numbered_sgpr, 12
	.set _Z16sort_keys_valuesILj256ELj10EhiN10test_utils4lessEEvPT1_PT2_T3_.num_named_barrier, 0
	.set _Z16sort_keys_valuesILj256ELj10EhiN10test_utils4lessEEvPT1_PT2_T3_.private_seg_size, 0
	.set _Z16sort_keys_valuesILj256ELj10EhiN10test_utils4lessEEvPT1_PT2_T3_.uses_vcc, 1
	.set _Z16sort_keys_valuesILj256ELj10EhiN10test_utils4lessEEvPT1_PT2_T3_.uses_flat_scratch, 0
	.set _Z16sort_keys_valuesILj256ELj10EhiN10test_utils4lessEEvPT1_PT2_T3_.has_dyn_sized_stack, 0
	.set _Z16sort_keys_valuesILj256ELj10EhiN10test_utils4lessEEvPT1_PT2_T3_.has_recursion, 0
	.set _Z16sort_keys_valuesILj256ELj10EhiN10test_utils4lessEEvPT1_PT2_T3_.has_indirect_call, 0
	.section	.AMDGPU.csdata,"",@progbits
; Kernel info:
; codeLenInByte = 4012
; TotalNumSgprs: 14
; NumVgprs: 25
; ScratchSize: 0
; MemoryBound: 0
; FloatMode: 240
; IeeeMode: 1
; LDSByteSize: 0 bytes/workgroup (compile time only)
; SGPRBlocks: 0
; VGPRBlocks: 1
; NumSGPRsForWavesPerEU: 14
; NumVGPRsForWavesPerEU: 25
; NamedBarCnt: 0
; Occupancy: 16
; WaveLimiterHint : 0
; COMPUTE_PGM_RSRC2:SCRATCH_EN: 0
; COMPUTE_PGM_RSRC2:USER_SGPR: 2
; COMPUTE_PGM_RSRC2:TRAP_HANDLER: 0
; COMPUTE_PGM_RSRC2:TGID_X_EN: 1
; COMPUTE_PGM_RSRC2:TGID_Y_EN: 0
; COMPUTE_PGM_RSRC2:TGID_Z_EN: 0
; COMPUTE_PGM_RSRC2:TIDIG_COMP_CNT: 0
	.section	.text._Z16sort_keys_valuesILj256ELj9EycN10test_utils4lessEEvPT1_PT2_T3_,"axG",@progbits,_Z16sort_keys_valuesILj256ELj9EycN10test_utils4lessEEvPT1_PT2_T3_,comdat
	.protected	_Z16sort_keys_valuesILj256ELj9EycN10test_utils4lessEEvPT1_PT2_T3_ ; -- Begin function _Z16sort_keys_valuesILj256ELj9EycN10test_utils4lessEEvPT1_PT2_T3_
	.globl	_Z16sort_keys_valuesILj256ELj9EycN10test_utils4lessEEvPT1_PT2_T3_
	.p2align	8
	.type	_Z16sort_keys_valuesILj256ELj9EycN10test_utils4lessEEvPT1_PT2_T3_,@function
_Z16sort_keys_valuesILj256ELj9EycN10test_utils4lessEEvPT1_PT2_T3_: ; @_Z16sort_keys_valuesILj256ELj9EycN10test_utils4lessEEvPT1_PT2_T3_
; %bb.0:
	s_load_b128 s[0:3], s[0:1], 0x0
	s_bfe_u32 s4, ttmp6, 0x4000c
	s_and_b32 s5, ttmp6, 15
	s_add_co_i32 s4, s4, 1
	s_getreg_b32 s6, hwreg(HW_REG_IB_STS2, 6, 4)
	s_mul_i32 s4, ttmp9, s4
	v_mul_u32_u24_e32 v26, 9, v0
	s_add_co_i32 s4, s5, s4
	s_cmp_eq_u32 s6, 0
	s_mov_b32 s5, 0
	s_cselect_b32 s4, ttmp9, s4
	s_delay_alu instid0(SALU_CYCLE_1)
	s_mulk_i32 s4, 0x900
	s_wait_kmcnt 0x0
	s_add_nc_u64 s[6:7], s[2:3], s[4:5]
	s_lshl_b64 s[2:3], s[4:5], 3
	global_load_b64 v[16:17], v26, s[6:7]
	v_lshlrev_b32_e32 v27, 3, v26
	s_add_nc_u64 s[8:9], s[0:1], s[2:3]
	s_wait_loadcnt 0x0
	v_lshrrev_b32_e32 v20, 8, v16
	s_clause 0x3
	global_load_b128 v[0:3], v27, s[8:9]
	global_load_b128 v[4:7], v27, s[8:9] offset:32
	global_load_b128 v[8:11], v27, s[8:9] offset:16
	;; [unrolled: 1-line block ×3, first 2 shown]
	s_clause 0x1
	global_load_u8 v24, v26, s[6:7] offset:8
	global_load_b64 v[18:19], v26, s[8:9] offset:64 scale_offset
	v_lshlrev_b16 v21, 8, v16
	v_lshrrev_b32_e32 v23, 16, v16
	v_lshlrev_b16 v22, 8, v20
	s_delay_alu instid0(VALU_DEP_3) | instskip(NEXT) | instid1(VALU_DEP_2)
	v_bitop3_b16 v20, v20, v21, 0xff bitop3:0xec
	v_bitop3_b16 v21, v16, v22, 0xff bitop3:0xec
	s_delay_alu instid0(VALU_DEP_4)
	v_perm_b32 v22, 0, v23, 0xc0c0001
	v_perm_b32 v23, v17, v17, 0x7060405
	s_wait_loadcnt 0x5
	v_cmp_lt_u64_e32 vcc_lo, v[2:3], v[0:1]
	s_wait_loadcnt 0x4
	v_cmp_lt_u64_e64 s0, v[6:7], v[4:5]
	s_wait_loadcnt 0x3
	v_cmp_lt_u64_e64 s1, v[10:11], v[8:9]
	;; [unrolled: 2-line block ×3, first 2 shown]
	v_dual_cndmask_b32 v20, v21, v20 :: v_dual_lshlrev_b32 v21, 16, v22
	s_delay_alu instid0(VALU_DEP_4) | instskip(NEXT) | instid1(VALU_DEP_2)
	v_cndmask_b32_e64 v22, v17, v23, s0
	v_bfi_b32 v16, 0xffff, v20, v16
	s_delay_alu instid0(VALU_DEP_3) | instskip(SKIP_1) | instid1(VALU_DEP_2)
	v_and_or_b32 v17, 0xffff, v20, v21
	v_dual_cndmask_b32 v21, v9, v11, s1 :: v_dual_cndmask_b32 v9, v11, v9, s1
	v_cndmask_b32_e64 v25, v16, v17, s1
	v_cndmask_b32_e32 v17, v3, v1, vcc_lo
	v_perm_b32 v23, v22, v22, 0x6070504
	v_dual_cndmask_b32 v16, v2, v0, vcc_lo :: v_dual_cndmask_b32 v20, v8, v10, s1
	s_delay_alu instid0(VALU_DEP_4) | instskip(SKIP_1) | instid1(VALU_DEP_4)
	v_perm_b32 v28, v25, v25, 0x7050604
	v_cndmask_b32_e64 v8, v10, v8, s1
	v_dual_cndmask_b32 v29, v22, v23, s2 :: v_dual_cndmask_b32 v0, v0, v2, vcc_lo
	v_cndmask_b32_e64 v2, v14, v12, s2
	v_cmp_lt_u64_e64 s3, v[20:21], v[16:17]
	v_cndmask_b32_e32 v1, v1, v3, vcc_lo
	s_delay_alu instid0(VALU_DEP_4) | instskip(NEXT) | instid1(VALU_DEP_3)
	v_lshlrev_b16 v22, 8, v29
	v_dual_cndmask_b32 v3, v15, v13, s2 :: v_dual_cndmask_b32 v25, v25, v28, s3
	v_cndmask_b32_e64 v11, v17, v21, s3
	s_delay_alu instid0(VALU_DEP_2) | instskip(NEXT) | instid1(VALU_DEP_1)
	v_lshrrev_b32_e32 v23, 16, v25
	v_bitop3_b16 v22, v23, v22, 0xff bitop3:0xec
	v_dual_cndmask_b32 v23, v5, v7, s0 :: v_dual_cndmask_b32 v5, v7, v5, s0
	v_cndmask_b32_e64 v7, v13, v15, s2
	s_delay_alu instid0(VALU_DEP_3) | instskip(SKIP_2) | instid1(VALU_DEP_3)
	v_dual_cndmask_b32 v13, v21, v17, s3 :: v_dual_lshlrev_b32 v28, 16, v22
	v_dual_cndmask_b32 v22, v4, v6, s0 :: v_dual_cndmask_b32 v4, v6, v4, s0
	v_perm_b32 v6, v25, v29, 0x3020107
	v_and_or_b32 v10, 0xffff, v25, v28
	s_delay_alu instid0(VALU_DEP_3) | instskip(NEXT) | instid1(VALU_DEP_1)
	v_cmp_lt_u64_e64 s0, v[22:23], v[8:9]
	v_dual_cndmask_b32 v28, v25, v10, s0 :: v_dual_cndmask_b32 v10, v16, v20, s3
	s_delay_alu instid0(VALU_DEP_1) | instskip(NEXT) | instid1(VALU_DEP_1)
	v_perm_b32 v25, 0, v28, 0xc0c0001
	v_and_or_b32 v25, 0xffff0000, v28, v25
	v_cndmask_b32_e64 v15, v29, v6, s0
	v_cndmask_b32_e64 v6, v12, v14, s2
	v_cmp_lt_u64_e32 vcc_lo, v[10:11], v[0:1]
	v_cndmask_b32_e64 v12, v20, v16, s3
	s_delay_alu instid0(VALU_DEP_3) | instskip(SKIP_2) | instid1(VALU_DEP_1)
	v_cmp_lt_u64_e64 s1, v[6:7], v[4:5]
	v_cndmask_b32_e32 v25, v28, v25, vcc_lo
	v_perm_b32 v14, v15, v15, 0x7050604
	v_dual_lshrrev_b32 v16, 16, v25 :: v_dual_cndmask_b32 v28, v15, v14, s1
	v_dual_cndmask_b32 v15, v23, v9, s0 :: v_dual_cndmask_b32 v14, v22, v8, s0
	v_dual_cndmask_b32 v9, v9, v23, s0 :: v_dual_cndmask_b32 v8, v8, v22, s0
	s_wait_loadcnt 0x0
	v_cmp_lt_u64_e64 s0, v[18:19], v[2:3]
	v_perm_b32 v20, v28, v24, 0x60504
	v_perm_b32 v21, 0, v16, 0xc0c0001
	v_dual_cndmask_b32 v17, v7, v5, s1 :: v_dual_cndmask_b32 v16, v6, v4, s1
	v_dual_cndmask_b32 v5, v5, v7, s1 :: v_dual_cndmask_b32 v4, v4, v6, s1
	s_delay_alu instid0(VALU_DEP_3) | instskip(SKIP_2) | instid1(VALU_DEP_4)
	v_dual_cndmask_b32 v20, v28, v20, s0 :: v_dual_lshlrev_b32 v21, 16, v21
	v_cmp_lt_u64_e64 s1, v[8:9], v[12:13]
	v_perm_b32 v24, v24, s0, 0x3020104
	v_cmp_lt_u64_e64 s2, v[4:5], v[14:15]
	s_delay_alu instid0(VALU_DEP_4) | instskip(SKIP_3) | instid1(VALU_DEP_4)
	v_perm_b32 v6, v20, v20, 0x7060405
	v_and_or_b32 v22, 0xffff, v25, v21
	v_cndmask_b32_e32 v7, v11, v1, vcc_lo
	v_dual_cndmask_b32 v21, v3, v19, s0 :: v_dual_cndmask_b32 v23, v13, v9, s1
	v_dual_lshrrev_b32 v28, 24, v28 :: v_dual_cndmask_b32 v29, v20, v6, s2
	s_delay_alu instid0(VALU_DEP_4) | instskip(SKIP_1) | instid1(VALU_DEP_3)
	v_dual_cndmask_b32 v6, v10, v0, vcc_lo :: v_dual_cndmask_b32 v25, v25, v22, s1
	v_dual_cndmask_b32 v22, v12, v8, s1 :: v_dual_cndmask_b32 v20, v2, v18, s0
	v_perm_b32 v30, v29, v29, 0x6070504
	v_cndmask_b32_e32 v0, v0, v10, vcc_lo
	s_delay_alu instid0(VALU_DEP_4) | instskip(NEXT) | instid1(VALU_DEP_4)
	v_perm_b32 v31, v25, v25, 0x7050604
	v_cmp_lt_u64_e64 s4, v[22:23], v[6:7]
	v_cmp_lt_u64_e64 s3, v[20:21], v[16:17]
	v_cndmask_b32_e64 v24, v24, v28, s0
	v_dual_cndmask_b32 v10, v14, v4, s2 :: v_dual_cndmask_b32 v9, v9, v13, s1
	v_dual_cndmask_b32 v8, v8, v12, s1 :: v_dual_cndmask_b32 v3, v19, v3, s0
	v_cndmask_b32_e64 v25, v25, v31, s4
	v_cndmask_b32_e64 v29, v29, v30, s3
	v_dual_cndmask_b32 v1, v1, v11, vcc_lo :: v_dual_cndmask_b32 v11, v15, v5, s2
	s_delay_alu instid0(VALU_DEP_3) | instskip(NEXT) | instid1(VALU_DEP_3)
	v_dual_cndmask_b32 v5, v5, v15, s2 :: v_dual_lshrrev_b32 v31, 16, v25
	v_lshlrev_b16 v30, 8, v29
	v_perm_b32 v12, v25, v29, 0x3020107
	s_delay_alu instid0(VALU_DEP_4) | instskip(SKIP_1) | instid1(VALU_DEP_4)
	v_cmp_lt_u64_e32 vcc_lo, v[10:11], v[8:9]
	v_cndmask_b32_e64 v4, v4, v14, s2
	v_bitop3_b16 v28, v31, v30, 0xff bitop3:0xec
	s_delay_alu instid0(VALU_DEP_4) | instskip(NEXT) | instid1(VALU_DEP_2)
	v_cndmask_b32_e32 v15, v29, v12, vcc_lo
	v_lshlrev_b32_e32 v13, 16, v28
	v_cndmask_b32_e64 v12, v16, v20, s3
	s_delay_alu instid0(VALU_DEP_3) | instskip(NEXT) | instid1(VALU_DEP_3)
	v_perm_b32 v19, v15, v15, 0x7050604
	v_and_or_b32 v14, 0xffff, v25, v13
	v_dual_cndmask_b32 v13, v17, v21, s3 :: v_dual_cndmask_b32 v2, v18, v2, s0
	s_delay_alu instid0(VALU_DEP_2) | instskip(NEXT) | instid1(VALU_DEP_2)
	v_dual_cndmask_b32 v18, v25, v14, vcc_lo :: v_dual_cndmask_b32 v14, v20, v16, s3
	v_cmp_lt_u64_e64 s0, v[12:13], v[4:5]
	v_cndmask_b32_e64 v16, v6, v22, s4
	v_lshlrev_b16 v25, 8, v24
	s_delay_alu instid0(VALU_DEP_3) | instskip(SKIP_2) | instid1(VALU_DEP_3)
	v_dual_cndmask_b32 v6, v22, v6, s4 :: v_dual_cndmask_b32 v28, v15, v19, s0
	v_dual_cndmask_b32 v15, v21, v17, s3 :: v_dual_cndmask_b32 v17, v7, v23, s4
	v_perm_b32 v19, 0, v18, 0xc0c0001
	v_dual_cndmask_b32 v7, v23, v7, s4 :: v_dual_lshrrev_b32 v20, 16, v28
	s_delay_alu instid0(VALU_DEP_3) | instskip(NEXT) | instid1(VALU_DEP_3)
	v_cmp_lt_u64_e64 s1, v[16:17], v[0:1]
	v_and_or_b32 v19, 0xffff0000, v18, v19
	s_delay_alu instid0(VALU_DEP_3) | instskip(NEXT) | instid1(VALU_DEP_2)
	v_bitop3_b16 v20, v20, v25, 0xff bitop3:0xec
	v_dual_cndmask_b32 v22, v18, v19, s1 :: v_dual_cndmask_b32 v19, v11, v9, vcc_lo
	s_delay_alu instid0(VALU_DEP_2) | instskip(SKIP_1) | instid1(VALU_DEP_3)
	v_lshlrev_b32_e32 v20, 16, v20
	v_dual_cndmask_b32 v18, v10, v8 :: v_dual_cndmask_b32 v9, v9, v11
	v_lshrrev_b32_e32 v21, 16, v22
	v_dual_cndmask_b32 v8, v8, v10, vcc_lo :: v_dual_cndmask_b32 v11, v13, v5, s0
	v_cmp_lt_u64_e32 vcc_lo, v[2:3], v[14:15]
	v_and_or_b32 v20, 0xffff, v28, v20
	s_delay_alu instid0(VALU_DEP_4) | instskip(SKIP_2) | instid1(VALU_DEP_3)
	v_perm_b32 v21, 0, v21, 0xc0c0001
	v_dual_cndmask_b32 v10, v12, v4, s0 :: v_dual_cndmask_b32 v5, v5, v13, s0
	v_dual_cndmask_b32 v4, v4, v12, s0 :: v_dual_cndmask_b32 v13, v17, v1, s1
	v_dual_cndmask_b32 v20, v28, v20 :: v_dual_lshlrev_b32 v21, 16, v21
	v_cmp_lt_u64_e64 s0, v[8:9], v[6:7]
	s_delay_alu instid0(VALU_DEP_3) | instskip(SKIP_1) | instid1(VALU_DEP_4)
	v_cmp_lt_u64_e64 s2, v[4:5], v[18:19]
	v_dual_cndmask_b32 v12, v16, v0, s1 :: v_dual_cndmask_b32 v1, v1, v17, s1
	v_perm_b32 v23, v20, v20, 0x7060405
	v_lshrrev_b32_e32 v25, 24, v28
	v_and_or_b32 v28, 0xffff, v22, v21
	v_dual_cndmask_b32 v21, v15, v3, vcc_lo :: v_dual_cndmask_b32 v0, v0, v16, s1
	v_cndmask_b32_e32 v3, v3, v15, vcc_lo
	s_delay_alu instid0(VALU_DEP_3) | instskip(SKIP_2) | instid1(VALU_DEP_3)
	v_dual_cndmask_b32 v29, v20, v23, s2 :: v_dual_cndmask_b32 v17, v22, v28, s0
	v_dual_cndmask_b32 v20, v14, v2, vcc_lo :: v_dual_cndmask_b32 v23, v7, v9, s0
	v_cndmask_b32_e32 v24, v24, v25, vcc_lo
	v_perm_b32 v28, v29, v29, 0x6070504
	s_delay_alu instid0(VALU_DEP_4) | instskip(SKIP_4) | instid1(VALU_DEP_4)
	v_perm_b32 v30, v17, v17, 0x7050604
	v_cndmask_b32_e64 v22, v6, v8, s0
	v_cmp_lt_u64_e64 s1, v[20:21], v[10:11]
	v_dual_cndmask_b32 v15, v5, v19, s2 :: v_dual_cndmask_b32 v16, v18, v4, s2
	v_cndmask_b32_e64 v7, v9, v7, s0
	v_cmp_lt_u64_e64 s3, v[22:23], v[12:13]
	s_delay_alu instid0(VALU_DEP_4) | instskip(NEXT) | instid1(VALU_DEP_2)
	v_cndmask_b32_e64 v28, v29, v28, s1
	v_cndmask_b32_e64 v29, v17, v30, s3
	v_cndmask_b32_e32 v2, v2, v14, vcc_lo
	s_delay_alu instid0(VALU_DEP_3) | instskip(SKIP_3) | instid1(VALU_DEP_1)
	v_lshlrev_b16 v14, 8, v28
	v_cndmask_b32_e64 v17, v19, v5, s2
	v_lshlrev_b16 v30, 8, v24
	v_lshrrev_b32_e32 v25, 16, v29
	v_bitop3_b16 v5, v25, v14, 0xff bitop3:0xec
	v_cndmask_b32_e64 v6, v8, v6, s0
	v_perm_b32 v8, v29, v28, 0x3020107
	v_dual_cndmask_b32 v14, v4, v18, s2 :: v_dual_cndmask_b32 v4, v10, v20, s1
	s_delay_alu instid0(VALU_DEP_4) | instskip(NEXT) | instid1(VALU_DEP_4)
	v_lshlrev_b32_e32 v9, 16, v5
	v_cmp_lt_u64_e32 vcc_lo, v[16:17], v[6:7]
	v_cndmask_b32_e64 v5, v11, v21, s1
	s_delay_alu instid0(VALU_DEP_3)
	v_and_or_b32 v19, 0xffff, v29, v9
	v_dual_cndmask_b32 v9, v21, v11, s1 :: v_dual_cndmask_b32 v11, v23, v13, s3
	v_cndmask_b32_e32 v18, v28, v8, vcc_lo
	v_cndmask_b32_e64 v8, v20, v10, s1
	v_cmp_lt_u64_e64 s0, v[4:5], v[14:15]
	v_dual_cndmask_b32 v21, v29, v19, vcc_lo :: v_dual_cndmask_b32 v10, v22, v12, s3
	v_cndmask_b32_e64 v13, v13, v23, s3
	v_perm_b32 v20, v18, v18, 0x7050604
	v_cndmask_b32_e64 v12, v12, v22, s3
	s_delay_alu instid0(VALU_DEP_4) | instskip(NEXT) | instid1(VALU_DEP_3)
	v_perm_b32 v23, 0, v21, 0xc0c0001
	v_dual_cndmask_b32 v20, v18, v20, s0 :: v_dual_cndmask_b32 v19, v17, v7, vcc_lo
	v_dual_cndmask_b32 v18, v16, v6 :: v_dual_cndmask_b32 v7, v7, v17
	s_delay_alu instid0(VALU_DEP_3) | instskip(NEXT) | instid1(VALU_DEP_3)
	v_and_or_b32 v23, 0xffff0000, v21, v23
	v_lshrrev_b32_e32 v22, 16, v20
	v_cndmask_b32_e32 v6, v6, v16, vcc_lo
	v_cmp_lt_u64_e32 vcc_lo, v[12:13], v[0:1]
	v_dual_cndmask_b32 v17, v5, v15, s0 :: v_dual_cndmask_b32 v16, v4, v14, s0
	s_delay_alu instid0(VALU_DEP_4) | instskip(SKIP_2) | instid1(VALU_DEP_3)
	v_bitop3_b16 v22, v22, v30, 0xff bitop3:0xec
	v_dual_cndmask_b32 v5, v15, v5, s0 :: v_dual_cndmask_b32 v4, v14, v4, s0
	v_cmp_lt_u64_e64 s0, v[2:3], v[8:9]
	v_dual_cndmask_b32 v21, v21, v23 :: v_dual_lshlrev_b32 v22, 16, v22
	v_lshrrev_b32_e32 v23, 24, v20
	v_cndmask_b32_e32 v14, v12, v0, vcc_lo
	s_delay_alu instid0(VALU_DEP_3) | instskip(NEXT) | instid1(VALU_DEP_4)
	v_dual_cndmask_b32 v0, v0, v12 :: v_dual_lshrrev_b32 v15, 16, v21
	v_and_or_b32 v22, 0xffff, v20, v22
	v_cmp_lt_u64_e64 s1, v[4:5], v[18:19]
	s_delay_alu instid0(VALU_DEP_3) | instskip(NEXT) | instid1(VALU_DEP_3)
	v_perm_b32 v25, 0, v15, 0xc0c0001
	v_dual_cndmask_b32 v20, v20, v22, s0 :: v_dual_cndmask_b32 v15, v13, v1, vcc_lo
	v_cndmask_b32_e32 v1, v1, v13, vcc_lo
	v_cmp_lt_u64_e32 vcc_lo, v[6:7], v[10:11]
	s_delay_alu instid0(VALU_DEP_4) | instskip(NEXT) | instid1(VALU_DEP_4)
	v_lshlrev_b32_e32 v22, 16, v25
	v_perm_b32 v12, v20, v20, 0x7060405
	v_cndmask_b32_e64 v24, v24, v23, s0
	v_dual_cndmask_b32 v13, v9, v3, s0 :: v_dual_cndmask_b32 v9, v3, v9, s0
	s_delay_alu instid0(VALU_DEP_4) | instskip(NEXT) | instid1(VALU_DEP_4)
	v_and_or_b32 v22, 0xffff, v21, v22
	v_cndmask_b32_e64 v20, v20, v12, s1
	v_dual_cndmask_b32 v12, v8, v2, s0 :: v_dual_cndmask_b32 v8, v2, v8, s0
	v_dual_cndmask_b32 v3, v11, v7 :: v_dual_cndmask_b32 v2, v10, v6
	s_delay_alu instid0(VALU_DEP_4) | instskip(NEXT) | instid1(VALU_DEP_3)
	v_cndmask_b32_e32 v21, v21, v22, vcc_lo
	v_cmp_lt_u64_e64 s0, v[12:13], v[16:17]
	v_perm_b32 v22, v20, v20, 0x6070504
	v_dual_cndmask_b32 v7, v7, v11 :: v_dual_cndmask_b32 v6, v6, v10
	v_cmp_lt_u64_e64 s2, v[2:3], v[14:15]
	v_perm_b32 v23, v21, v21, 0x7050604
	v_lshlrev_b16 v25, 8, v24
	v_dual_cndmask_b32 v22, v20, v22, s0 :: v_dual_cndmask_b32 v20, v18, v4, s1
	s_delay_alu instid0(VALU_DEP_3) | instskip(SKIP_1) | instid1(VALU_DEP_3)
	v_dual_cndmask_b32 v4, v4, v18, s1 :: v_dual_cndmask_b32 v23, v21, v23, s2
	v_cndmask_b32_e64 v21, v19, v5, s1
	v_lshlrev_b16 v11, 8, v22
	s_delay_alu instid0(VALU_DEP_3) | instskip(NEXT) | instid1(VALU_DEP_3)
	v_lshrrev_b32_e32 v28, 16, v23
	v_cmp_lt_u64_e32 vcc_lo, v[20:21], v[6:7]
	v_perm_b32 v10, v23, v22, 0x3020107
	v_cndmask_b32_e64 v5, v5, v19, s1
	s_delay_alu instid0(VALU_DEP_4) | instskip(SKIP_1) | instid1(VALU_DEP_4)
	v_bitop3_b16 v18, v28, v11, 0xff bitop3:0xec
	v_cndmask_b32_e64 v11, v17, v13, s0
	v_dual_cndmask_b32 v13, v13, v17, s0 :: v_dual_cndmask_b32 v19, v22, v10, vcc_lo
	s_delay_alu instid0(VALU_DEP_3) | instskip(SKIP_1) | instid1(VALU_DEP_3)
	v_dual_cndmask_b32 v10, v16, v12, s0 :: v_dual_lshlrev_b32 v18, 16, v18
	v_dual_cndmask_b32 v12, v12, v16, s0 :: v_dual_cndmask_b32 v17, v3, v15, s2
	v_perm_b32 v22, v19, v19, 0x7050604
	s_delay_alu instid0(VALU_DEP_3) | instskip(NEXT) | instid1(VALU_DEP_4)
	v_cmp_lt_u64_e64 s0, v[10:11], v[4:5]
	v_and_or_b32 v28, 0xffff, v23, v18
	v_cndmask_b32_e64 v16, v2, v14, s2
	v_cndmask_b32_e64 v18, v14, v2, s2
	v_dual_cndmask_b32 v14, v20, v6, vcc_lo :: v_dual_cndmask_b32 v20, v6, v20, vcc_lo
	s_delay_alu instid0(VALU_DEP_4) | instskip(SKIP_3) | instid1(VALU_DEP_4)
	v_cndmask_b32_e32 v2, v23, v28, vcc_lo
	v_cndmask_b32_e64 v29, v19, v22, s0
	v_cndmask_b32_e64 v19, v15, v3, s2
	v_dual_cndmask_b32 v15, v21, v7, vcc_lo :: v_dual_cndmask_b32 v21, v7, v21, vcc_lo
	v_perm_b32 v7, 0, v2, 0xc0c0001
	s_delay_alu instid0(VALU_DEP_4) | instskip(NEXT) | instid1(VALU_DEP_4)
	v_lshrrev_b32_e32 v3, 16, v29
	v_cmp_lt_u64_e32 vcc_lo, v[18:19], v[0:1]
	v_dual_cndmask_b32 v23, v11, v5, s0 :: v_dual_cndmask_b32 v22, v10, v4, s0
	s_delay_alu instid0(VALU_DEP_4) | instskip(NEXT) | instid1(VALU_DEP_4)
	v_and_or_b32 v6, 0xffff0000, v2, v7
	v_bitop3_b16 v3, v3, v25, 0xff bitop3:0xec
	v_dual_cndmask_b32 v5, v5, v11, s0 :: v_dual_cndmask_b32 v4, v4, v10, s0
	v_cmp_lt_u64_e64 s0, v[8:9], v[12:13]
	s_delay_alu instid0(VALU_DEP_3) | instskip(SKIP_1) | instid1(VALU_DEP_4)
	v_dual_cndmask_b32 v10, v2, v6 :: v_dual_lshlrev_b32 v3, 16, v3
	v_lshrrev_b32_e32 v6, 24, v29
	v_cmp_lt_u64_e64 s1, v[4:5], v[14:15]
	s_delay_alu instid0(VALU_DEP_3) | instskip(NEXT) | instid1(VALU_DEP_4)
	v_lshrrev_b32_e32 v7, 16, v10
	v_and_or_b32 v2, 0xffff, v29, v3
	s_delay_alu instid0(VALU_DEP_4) | instskip(SKIP_1) | instid1(VALU_DEP_4)
	v_dual_cndmask_b32 v3, v19, v1, vcc_lo :: v_dual_cndmask_b32 v28, v24, v6, s0
	v_cndmask_b32_e64 v25, v9, v13, s0
	v_perm_b32 v6, 0, v7, 0xc0c0001
	s_delay_alu instid0(VALU_DEP_4) | instskip(SKIP_1) | instid1(VALU_DEP_3)
	v_dual_cndmask_b32 v11, v29, v2, s0 :: v_dual_cndmask_b32 v24, v8, v12, s0
	v_dual_cndmask_b32 v13, v13, v9, s0 :: v_dual_cndmask_b32 v12, v12, v8, s0
	v_lshlrev_b32_e32 v9, 16, v6
	s_delay_alu instid0(VALU_DEP_3) | instskip(SKIP_3) | instid1(VALU_DEP_4)
	v_perm_b32 v7, v11, v11, 0x7060405
	v_cmp_lt_u64_e64 s0, v[20:21], v[16:17]
	v_dual_cndmask_b32 v6, v4, v14, s1 :: v_dual_cndmask_b32 v2, v18, v0, vcc_lo
	v_cndmask_b32_e32 v1, v1, v19, vcc_lo
	v_cndmask_b32_e64 v8, v11, v7, s1
	v_and_or_b32 v9, 0xffff, v10, v9
	v_dual_cndmask_b32 v7, v5, v15, s1 :: v_dual_cndmask_b32 v5, v15, v5, s1
	v_cndmask_b32_e32 v0, v0, v18, vcc_lo
	s_delay_alu instid0(VALU_DEP_4) | instskip(SKIP_3) | instid1(VALU_DEP_2)
	v_perm_b32 v11, v8, v8, 0x6070504
	v_cndmask_b32_e64 v4, v14, v4, s1
	v_cmp_lt_u64_e64 s1, v[12:13], v[22:23]
	v_dual_cndmask_b32 v29, v10, v9, s0 :: v_dual_cndmask_b32 v10, v20, v16, s0
	v_dual_cndmask_b32 v9, v17, v21, s0 :: v_dual_cndmask_b32 v14, v12, v22, s1
	;; [unrolled: 1-line block ×3, first 2 shown]
	s_delay_alu instid0(VALU_DEP_3)
	v_dual_cndmask_b32 v8, v16, v20, s0 :: v_dual_lshrrev_b32 v16, 16, v29
	v_dual_cndmask_b32 v12, v22, v12, s1 :: v_dual_cndmask_b32 v15, v13, v23, s1
	v_cndmask_b32_e64 v13, v23, v13, s1
	s_clause 0x1
	global_store_b128 v27, v[8:11], s[8:9] offset:16
	global_store_b128 v27, v[4:7], s[8:9] offset:32
	v_perm_b32 v18, v29, v16, 0x7000504
	s_clause 0x4
	global_store_b128 v27, v[12:15], s[8:9] offset:48
	global_store_b128 v27, v[0:3], s[8:9]
	global_store_b64 v26, v[24:25], s[8:9] offset:64 scale_offset
	global_store_b8 v26, v28, s[6:7] offset:8
	global_store_b64 v26, v[18:19], s[6:7]
	s_endpgm
	.section	.rodata,"a",@progbits
	.p2align	6, 0x0
	.amdhsa_kernel _Z16sort_keys_valuesILj256ELj9EycN10test_utils4lessEEvPT1_PT2_T3_
		.amdhsa_group_segment_fixed_size 0
		.amdhsa_private_segment_fixed_size 0
		.amdhsa_kernarg_size 20
		.amdhsa_user_sgpr_count 2
		.amdhsa_user_sgpr_dispatch_ptr 0
		.amdhsa_user_sgpr_queue_ptr 0
		.amdhsa_user_sgpr_kernarg_segment_ptr 1
		.amdhsa_user_sgpr_dispatch_id 0
		.amdhsa_user_sgpr_kernarg_preload_length 0
		.amdhsa_user_sgpr_kernarg_preload_offset 0
		.amdhsa_user_sgpr_private_segment_size 0
		.amdhsa_wavefront_size32 1
		.amdhsa_uses_dynamic_stack 0
		.amdhsa_enable_private_segment 0
		.amdhsa_system_sgpr_workgroup_id_x 1
		.amdhsa_system_sgpr_workgroup_id_y 0
		.amdhsa_system_sgpr_workgroup_id_z 0
		.amdhsa_system_sgpr_workgroup_info 0
		.amdhsa_system_vgpr_workitem_id 0
		.amdhsa_next_free_vgpr 32
		.amdhsa_next_free_sgpr 10
		.amdhsa_named_barrier_count 0
		.amdhsa_reserve_vcc 1
		.amdhsa_float_round_mode_32 0
		.amdhsa_float_round_mode_16_64 0
		.amdhsa_float_denorm_mode_32 3
		.amdhsa_float_denorm_mode_16_64 3
		.amdhsa_fp16_overflow 0
		.amdhsa_memory_ordered 1
		.amdhsa_forward_progress 1
		.amdhsa_inst_pref_size 23
		.amdhsa_round_robin_scheduling 0
		.amdhsa_exception_fp_ieee_invalid_op 0
		.amdhsa_exception_fp_denorm_src 0
		.amdhsa_exception_fp_ieee_div_zero 0
		.amdhsa_exception_fp_ieee_overflow 0
		.amdhsa_exception_fp_ieee_underflow 0
		.amdhsa_exception_fp_ieee_inexact 0
		.amdhsa_exception_int_div_zero 0
	.end_amdhsa_kernel
	.section	.text._Z16sort_keys_valuesILj256ELj9EycN10test_utils4lessEEvPT1_PT2_T3_,"axG",@progbits,_Z16sort_keys_valuesILj256ELj9EycN10test_utils4lessEEvPT1_PT2_T3_,comdat
.Lfunc_end20:
	.size	_Z16sort_keys_valuesILj256ELj9EycN10test_utils4lessEEvPT1_PT2_T3_, .Lfunc_end20-_Z16sort_keys_valuesILj256ELj9EycN10test_utils4lessEEvPT1_PT2_T3_
                                        ; -- End function
	.set _Z16sort_keys_valuesILj256ELj9EycN10test_utils4lessEEvPT1_PT2_T3_.num_vgpr, 32
	.set _Z16sort_keys_valuesILj256ELj9EycN10test_utils4lessEEvPT1_PT2_T3_.num_agpr, 0
	.set _Z16sort_keys_valuesILj256ELj9EycN10test_utils4lessEEvPT1_PT2_T3_.numbered_sgpr, 10
	.set _Z16sort_keys_valuesILj256ELj9EycN10test_utils4lessEEvPT1_PT2_T3_.num_named_barrier, 0
	.set _Z16sort_keys_valuesILj256ELj9EycN10test_utils4lessEEvPT1_PT2_T3_.private_seg_size, 0
	.set _Z16sort_keys_valuesILj256ELj9EycN10test_utils4lessEEvPT1_PT2_T3_.uses_vcc, 1
	.set _Z16sort_keys_valuesILj256ELj9EycN10test_utils4lessEEvPT1_PT2_T3_.uses_flat_scratch, 0
	.set _Z16sort_keys_valuesILj256ELj9EycN10test_utils4lessEEvPT1_PT2_T3_.has_dyn_sized_stack, 0
	.set _Z16sort_keys_valuesILj256ELj9EycN10test_utils4lessEEvPT1_PT2_T3_.has_recursion, 0
	.set _Z16sort_keys_valuesILj256ELj9EycN10test_utils4lessEEvPT1_PT2_T3_.has_indirect_call, 0
	.section	.AMDGPU.csdata,"",@progbits
; Kernel info:
; codeLenInByte = 2836
; TotalNumSgprs: 12
; NumVgprs: 32
; ScratchSize: 0
; MemoryBound: 0
; FloatMode: 240
; IeeeMode: 1
; LDSByteSize: 0 bytes/workgroup (compile time only)
; SGPRBlocks: 0
; VGPRBlocks: 1
; NumSGPRsForWavesPerEU: 12
; NumVGPRsForWavesPerEU: 32
; NamedBarCnt: 0
; Occupancy: 16
; WaveLimiterHint : 0
; COMPUTE_PGM_RSRC2:SCRATCH_EN: 0
; COMPUTE_PGM_RSRC2:USER_SGPR: 2
; COMPUTE_PGM_RSRC2:TRAP_HANDLER: 0
; COMPUTE_PGM_RSRC2:TGID_X_EN: 1
; COMPUTE_PGM_RSRC2:TGID_Y_EN: 0
; COMPUTE_PGM_RSRC2:TGID_Z_EN: 0
; COMPUTE_PGM_RSRC2:TIDIG_COMP_CNT: 0
	.section	.text._Z16sort_keys_valuesILj256ELj8EtcN10test_utils4lessEEvPT1_PT2_T3_,"axG",@progbits,_Z16sort_keys_valuesILj256ELj8EtcN10test_utils4lessEEvPT1_PT2_T3_,comdat
	.protected	_Z16sort_keys_valuesILj256ELj8EtcN10test_utils4lessEEvPT1_PT2_T3_ ; -- Begin function _Z16sort_keys_valuesILj256ELj8EtcN10test_utils4lessEEvPT1_PT2_T3_
	.globl	_Z16sort_keys_valuesILj256ELj8EtcN10test_utils4lessEEvPT1_PT2_T3_
	.p2align	8
	.type	_Z16sort_keys_valuesILj256ELj8EtcN10test_utils4lessEEvPT1_PT2_T3_,@function
_Z16sort_keys_valuesILj256ELj8EtcN10test_utils4lessEEvPT1_PT2_T3_: ; @_Z16sort_keys_valuesILj256ELj8EtcN10test_utils4lessEEvPT1_PT2_T3_
; %bb.0:
	s_load_b128 s[0:3], s[0:1], 0x0
	s_bfe_u32 s4, ttmp6, 0x4000c
	s_and_b32 s5, ttmp6, 15
	s_add_co_i32 s4, s4, 1
	s_getreg_b32 s6, hwreg(HW_REG_IB_STS2, 6, 4)
	s_mul_i32 s4, ttmp9, s4
	s_delay_alu instid0(SALU_CYCLE_1)
	s_add_co_i32 s5, s5, s4
	s_cmp_eq_u32 s6, 0
	s_cselect_b32 s4, ttmp9, s5
	s_mov_b32 s5, 0
	s_lshl_b32 s4, s4, 11
	s_wait_kmcnt 0x0
	s_add_nc_u64 s[2:3], s[2:3], s[4:5]
	s_lshl_b64 s[4:5], s[4:5], 1
	global_load_b64 v[6:7], v0, s[2:3] scale_offset
	s_add_nc_u64 s[4:5], s[0:1], s[4:5]
	global_load_b128 v[2:5], v0, s[4:5] scale_offset
	s_wait_loadcnt 0x1
	v_lshrrev_b32_e32 v1, 16, v6
	v_perm_b32 v8, 0, v6, 0xc0c0001
	v_perm_b32 v7, v7, v7, 0x3020504
	s_wait_loadcnt 0x0
	v_dual_lshrrev_b32 v9, 16, v2 :: v_dual_lshrrev_b32 v11, 16, v3
	v_perm_b32 v1, 0, v1, 0xc0c0001
	v_alignbit_b32 v10, v2, v2, 16
	v_perm_b32 v12, v7, v7, 0x7060405
	s_delay_alu instid0(VALU_DEP_4)
	v_cmp_lt_u16_e32 vcc_lo, v9, v2
	v_alignbit_b32 v13, v3, v3, 16
	v_dual_lshlrev_b32 v1, 16, v1 :: v_dual_lshrrev_b32 v9, 16, v4
	v_cndmask_b32_e32 v8, v6, v8, vcc_lo
	v_cndmask_b32_e32 v2, v2, v10, vcc_lo
	v_cmp_lt_u16_e32 vcc_lo, v11, v3
	s_delay_alu instid0(VALU_DEP_4) | instskip(NEXT) | instid1(VALU_DEP_4)
	v_cmp_lt_u16_e64 s0, v9, v4
	v_bfi_b32 v6, 0xffff, v8, v6
	v_and_or_b32 v1, 0xffff, v8, v1
	s_delay_alu instid0(VALU_DEP_3) | instskip(SKIP_1) | instid1(VALU_DEP_3)
	v_dual_lshrrev_b32 v9, 16, v2 :: v_dual_cndmask_b32 v7, v7, v12, s0
	v_cndmask_b32_e32 v3, v3, v13, vcc_lo
	v_cndmask_b32_e32 v1, v6, v1, vcc_lo
	s_delay_alu instid0(VALU_DEP_3) | instskip(NEXT) | instid1(VALU_DEP_3)
	v_perm_b32 v8, v7, v7, 0x6070504
	v_cmp_lt_u16_e64 s1, v3, v9
	s_delay_alu instid0(VALU_DEP_3) | instskip(NEXT) | instid1(VALU_DEP_1)
	v_perm_b32 v10, v1, v1, 0x7050604
	v_dual_lshrrev_b32 v6, 16, v5 :: v_dual_cndmask_b32 v1, v1, v10, s1
	s_delay_alu instid0(VALU_DEP_1) | instskip(SKIP_1) | instid1(VALU_DEP_3)
	v_cmp_lt_u16_e32 vcc_lo, v6, v5
	v_alignbit_b32 v10, v5, v5, 16
	v_dual_cndmask_b32 v6, v7, v8, vcc_lo :: v_dual_lshrrev_b32 v8, 16, v1
	s_delay_alu instid0(VALU_DEP_1) | instskip(NEXT) | instid1(VALU_DEP_1)
	v_lshlrev_b16 v7, 8, v6
	v_bitop3_b16 v7, v8, v7, 0xff bitop3:0xec
	v_alignbit_b32 v8, v4, v4, 16
	s_delay_alu instid0(VALU_DEP_2) | instskip(SKIP_1) | instid1(VALU_DEP_3)
	v_lshlrev_b32_e32 v7, 16, v7
	v_perm_b32 v9, v3, v2, 0x7060302
	v_cndmask_b32_e64 v4, v4, v8, s0
	s_delay_alu instid0(VALU_DEP_3) | instskip(NEXT) | instid1(VALU_DEP_3)
	v_and_or_b32 v7, 0xffff, v1, v7
	v_cndmask_b32_e64 v9, v3, v9, s1
	v_perm_b32 v3, v3, v2, 0x5040100
	s_delay_alu instid0(VALU_DEP_2) | instskip(NEXT) | instid1(VALU_DEP_1)
	v_lshrrev_b32_e32 v8, 16, v9
	v_cmp_lt_u16_e64 s0, v4, v8
	v_perm_b32 v8, v4, v9, 0x7060302
	s_delay_alu instid0(VALU_DEP_4) | instskip(NEXT) | instid1(VALU_DEP_2)
	v_cndmask_b32_e64 v2, v2, v3, s1
	v_dual_cndmask_b32 v7, v1, v7, s0 :: v_dual_cndmask_b32 v8, v4, v8, s0
	v_perm_b32 v1, v1, v6, 0x3020107
	v_cndmask_b32_e32 v5, v5, v10, vcc_lo
	v_perm_b32 v4, v4, v9, 0x5040100
	s_delay_alu instid0(VALU_DEP_4) | instskip(NEXT) | instid1(VALU_DEP_4)
	v_perm_b32 v3, 0, v7, 0xc0c0001
	v_cndmask_b32_e64 v1, v6, v1, s0
	s_delay_alu instid0(VALU_DEP_2) | instskip(SKIP_1) | instid1(VALU_DEP_1)
	v_and_or_b32 v3, 0xffff0000, v7, v3
	v_lshrrev_b32_e32 v11, 16, v2
	v_cmp_lt_u16_e32 vcc_lo, v11, v2
	s_delay_alu instid0(VALU_DEP_4) | instskip(NEXT) | instid1(VALU_DEP_4)
	v_perm_b32 v11, v1, v1, 0x7050604
	v_dual_cndmask_b32 v3, v7, v3 :: v_dual_lshrrev_b32 v6, 16, v8
	v_perm_b32 v7, v5, v8, 0x5040100
	s_delay_alu instid0(VALU_DEP_2) | instskip(NEXT) | instid1(VALU_DEP_3)
	v_lshrrev_b32_e32 v10, 16, v3
	v_cmp_lt_u16_e64 s1, v5, v6
	v_cndmask_b32_e64 v4, v9, v4, s0
	v_alignbit_b32 v6, v2, v2, 16
	s_delay_alu instid0(VALU_DEP_4) | instskip(NEXT) | instid1(VALU_DEP_4)
	v_perm_b32 v9, 0, v10, 0xc0c0001
	v_cndmask_b32_e64 v7, v8, v7, s1
	s_delay_alu instid0(VALU_DEP_4) | instskip(SKIP_1) | instid1(VALU_DEP_3)
	v_dual_cndmask_b32 v1, v1, v11, s1 :: v_dual_lshrrev_b32 v10, 16, v4
	v_perm_b32 v8, v5, v8, 0x7060302
	v_dual_lshlrev_b32 v9, 16, v9 :: v_dual_lshrrev_b32 v12, 16, v7
	s_delay_alu instid0(VALU_DEP_3) | instskip(NEXT) | instid1(VALU_DEP_3)
	v_perm_b32 v13, v1, v1, 0x7060405
	v_dual_cndmask_b32 v2, v2, v6, vcc_lo :: v_dual_cndmask_b32 v5, v5, v8, s1
	v_alignbit_b32 v11, v4, v4, 16
	s_delay_alu instid0(VALU_DEP_4) | instskip(SKIP_3) | instid1(VALU_DEP_2)
	v_cmp_lt_u16_e32 vcc_lo, v12, v7
	v_and_or_b32 v8, 0xffff, v3, v9
	v_cmp_lt_u16_e64 s0, v10, v4
	v_lshrrev_b32_e32 v6, 16, v5
	v_dual_cndmask_b32 v1, v1, v13, vcc_lo :: v_dual_cndmask_b32 v3, v3, v8, s0
	v_lshrrev_b32_e32 v8, 16, v2
	s_delay_alu instid0(VALU_DEP_2) | instskip(SKIP_3) | instid1(VALU_DEP_2)
	v_perm_b32 v9, v1, v1, 0x6070504
	v_cndmask_b32_e64 v4, v4, v11, s0
	v_cmp_lt_u16_e64 s0, v6, v5
	v_perm_b32 v10, v3, v3, 0x7050604
	v_cndmask_b32_e64 v1, v1, v9, s0
	s_delay_alu instid0(VALU_DEP_4) | instskip(SKIP_1) | instid1(VALU_DEP_3)
	v_cmp_lt_u16_e64 s1, v4, v8
	v_perm_b32 v9, v4, v2, 0x7060302
	v_lshlrev_b16 v6, 8, v1
	s_delay_alu instid0(VALU_DEP_2) | instskip(SKIP_2) | instid1(VALU_DEP_2)
	v_dual_cndmask_b32 v3, v3, v10, s1 :: v_dual_cndmask_b32 v9, v4, v9, s1
	v_perm_b32 v4, v4, v2, 0x5040100
	v_alignbit_b32 v10, v5, v5, 16
	v_dual_lshrrev_b32 v8, 16, v3 :: v_dual_cndmask_b32 v2, v2, v4, s1
	s_delay_alu instid0(VALU_DEP_1) | instskip(SKIP_1) | instid1(VALU_DEP_1)
	v_bitop3_b16 v6, v8, v6, 0xff bitop3:0xec
	v_alignbit_b32 v8, v7, v7, 16
	v_dual_cndmask_b32 v7, v7, v8 :: v_dual_lshlrev_b32 v6, 16, v6
	v_lshrrev_b32_e32 v8, 16, v9
	s_delay_alu instid0(VALU_DEP_2) | instskip(NEXT) | instid1(VALU_DEP_2)
	v_and_or_b32 v6, 0xffff, v3, v6
	v_cmp_lt_u16_e32 vcc_lo, v7, v8
	v_perm_b32 v8, v7, v9, 0x7060302
	v_lshrrev_b32_e32 v11, 16, v2
	s_delay_alu instid0(VALU_DEP_4) | instskip(SKIP_1) | instid1(VALU_DEP_4)
	v_cndmask_b32_e32 v6, v3, v6, vcc_lo
	v_perm_b32 v3, v3, v1, 0x3020107
	v_cndmask_b32_e32 v8, v7, v8, vcc_lo
	s_delay_alu instid0(VALU_DEP_3) | instskip(NEXT) | instid1(VALU_DEP_2)
	v_perm_b32 v4, 0, v6, 0xc0c0001
	v_dual_cndmask_b32 v1, v1, v3, vcc_lo :: v_dual_lshrrev_b32 v3, 16, v8
	s_delay_alu instid0(VALU_DEP_2) | instskip(SKIP_2) | instid1(VALU_DEP_4)
	v_and_or_b32 v4, 0xffff0000, v6, v4
	v_cndmask_b32_e64 v5, v5, v10, s0
	v_cmp_lt_u16_e64 s0, v11, v2
	v_perm_b32 v11, v1, v1, 0x7050604
	s_delay_alu instid0(VALU_DEP_2) | instskip(SKIP_4) | instid1(VALU_DEP_4)
	v_cndmask_b32_e64 v4, v6, v4, s0
	v_perm_b32 v6, v7, v9, 0x5040100
	v_perm_b32 v7, v5, v8, 0x5040100
	v_cmp_lt_u16_e64 s1, v5, v3
	v_alignbit_b32 v3, v2, v2, 16
	v_dual_lshrrev_b32 v10, 16, v4 :: v_dual_cndmask_b32 v6, v9, v6, vcc_lo
	s_delay_alu instid0(VALU_DEP_3) | instskip(NEXT) | instid1(VALU_DEP_2)
	v_cndmask_b32_e64 v1, v1, v11, s1
	v_perm_b32 v9, 0, v10, 0xc0c0001
	v_cndmask_b32_e64 v7, v8, v7, s1
	v_perm_b32 v8, v5, v8, 0x7060302
	v_lshrrev_b32_e32 v10, 16, v6
	v_alignbit_b32 v11, v6, v6, 16
	s_delay_alu instid0(VALU_DEP_4) | instskip(NEXT) | instid1(VALU_DEP_4)
	v_dual_lshlrev_b32 v9, 16, v9 :: v_dual_lshrrev_b32 v12, 16, v7
	v_cndmask_b32_e64 v5, v5, v8, s1
	v_perm_b32 v13, v1, v1, 0x7060405
	s_delay_alu instid0(VALU_DEP_3) | instskip(NEXT) | instid1(VALU_DEP_4)
	v_and_or_b32 v8, 0xffff, v4, v9
	v_cmp_lt_u16_e32 vcc_lo, v12, v7
	v_cndmask_b32_e64 v2, v2, v3, s0
	v_cmp_lt_u16_e64 s0, v10, v6
	s_delay_alu instid0(VALU_DEP_1) | instskip(NEXT) | instid1(VALU_DEP_3)
	v_dual_cndmask_b32 v1, v1, v13, vcc_lo :: v_dual_cndmask_b32 v3, v4, v8, s0
	v_dual_lshrrev_b32 v4, 16, v5 :: v_dual_lshrrev_b32 v8, 16, v2
	v_cndmask_b32_e64 v6, v6, v11, s0
	s_delay_alu instid0(VALU_DEP_3) | instskip(NEXT) | instid1(VALU_DEP_4)
	v_perm_b32 v9, v1, v1, 0x6070504
	v_perm_b32 v10, v3, v3, 0x7050604
	s_delay_alu instid0(VALU_DEP_4) | instskip(NEXT) | instid1(VALU_DEP_4)
	v_cmp_lt_u16_e64 s0, v4, v5
	v_cmp_lt_u16_e64 s1, v6, v8
	s_delay_alu instid0(VALU_DEP_2) | instskip(SKIP_1) | instid1(VALU_DEP_3)
	v_cndmask_b32_e64 v1, v1, v9, s0
	v_perm_b32 v9, v6, v2, 0x7060302
	v_cndmask_b32_e64 v3, v3, v10, s1
	v_alignbit_b32 v10, v5, v5, 16
	s_delay_alu instid0(VALU_DEP_4) | instskip(NEXT) | instid1(VALU_DEP_3)
	v_lshlrev_b16 v4, 8, v1
	v_dual_cndmask_b32 v9, v6, v9, s1 :: v_dual_lshrrev_b32 v8, 16, v3
	v_perm_b32 v6, v6, v2, 0x5040100
	s_delay_alu instid0(VALU_DEP_4) | instskip(NEXT) | instid1(VALU_DEP_3)
	v_cndmask_b32_e64 v5, v5, v10, s0
	v_bitop3_b16 v4, v8, v4, 0xff bitop3:0xec
	v_alignbit_b32 v8, v7, v7, 16
	s_delay_alu instid0(VALU_DEP_2) | instskip(NEXT) | instid1(VALU_DEP_2)
	v_dual_cndmask_b32 v2, v2, v6, s1 :: v_dual_lshlrev_b32 v4, 16, v4
	v_dual_cndmask_b32 v7, v7, v8 :: v_dual_lshrrev_b32 v8, 16, v9
	s_delay_alu instid0(VALU_DEP_2) | instskip(NEXT) | instid1(VALU_DEP_3)
	v_lshrrev_b32_e32 v11, 16, v2
	v_and_or_b32 v4, 0xffff, v3, v4
	s_delay_alu instid0(VALU_DEP_3) | instskip(SKIP_1) | instid1(VALU_DEP_4)
	v_cmp_lt_u16_e32 vcc_lo, v7, v8
	v_perm_b32 v8, v7, v9, 0x7060302
	v_cmp_lt_u16_e64 s0, v11, v2
	s_delay_alu instid0(VALU_DEP_4) | instskip(SKIP_1) | instid1(VALU_DEP_4)
	v_cndmask_b32_e32 v4, v3, v4, vcc_lo
	v_perm_b32 v3, v3, v1, 0x3020107
	v_cndmask_b32_e32 v8, v7, v8, vcc_lo
	s_delay_alu instid0(VALU_DEP_3) | instskip(NEXT) | instid1(VALU_DEP_3)
	v_perm_b32 v6, 0, v4, 0xc0c0001
	v_cndmask_b32_e32 v1, v1, v3, vcc_lo
	s_delay_alu instid0(VALU_DEP_2) | instskip(NEXT) | instid1(VALU_DEP_2)
	v_and_or_b32 v6, 0xffff0000, v4, v6
	v_perm_b32 v11, v1, v1, 0x7050604
	s_delay_alu instid0(VALU_DEP_2) | instskip(SKIP_3) | instid1(VALU_DEP_3)
	v_cndmask_b32_e64 v4, v4, v6, s0
	v_perm_b32 v6, v7, v9, 0x5040100
	v_lshrrev_b32_e32 v3, 16, v8
	v_perm_b32 v7, v5, v8, 0x5040100
	v_cndmask_b32_e32 v6, v9, v6, vcc_lo
	s_delay_alu instid0(VALU_DEP_3) | instskip(SKIP_2) | instid1(VALU_DEP_3)
	v_cmp_lt_u16_e64 s1, v5, v3
	v_lshrrev_b32_e32 v10, 16, v4
	v_alignbit_b32 v3, v2, v2, 16
	v_cndmask_b32_e64 v1, v1, v11, s1
	s_delay_alu instid0(VALU_DEP_3) | instskip(SKIP_2) | instid1(VALU_DEP_4)
	v_perm_b32 v9, 0, v10, 0xc0c0001
	v_dual_cndmask_b32 v7, v8, v7, s1 :: v_dual_lshrrev_b32 v10, 16, v6
	v_perm_b32 v8, v5, v8, 0x7060302
	v_perm_b32 v13, v1, v1, 0x7060405
	s_delay_alu instid0(VALU_DEP_3) | instskip(NEXT) | instid1(VALU_DEP_3)
	v_dual_lshlrev_b32 v9, 16, v9 :: v_dual_lshrrev_b32 v12, 16, v7
	v_dual_cndmask_b32 v2, v2, v3, s0 :: v_dual_cndmask_b32 v5, v5, v8, s1
	v_cmp_lt_u16_e64 s0, v10, v6
	s_delay_alu instid0(VALU_DEP_3) | instskip(NEXT) | instid1(VALU_DEP_4)
	v_and_or_b32 v8, 0xffff, v4, v9
	v_cmp_lt_u16_e32 vcc_lo, v12, v7
	v_alignbit_b32 v11, v6, v6, 16
	s_delay_alu instid0(VALU_DEP_3) | instskip(SKIP_1) | instid1(VALU_DEP_2)
	v_dual_cndmask_b32 v3, v4, v8, s0 :: v_dual_cndmask_b32 v1, v1, v13, vcc_lo
	v_dual_lshrrev_b32 v4, 16, v5 :: v_dual_lshrrev_b32 v8, 16, v2
	v_perm_b32 v9, v1, v1, 0x6070504
	s_delay_alu instid0(VALU_DEP_4) | instskip(NEXT) | instid1(VALU_DEP_3)
	v_cndmask_b32_e64 v10, v6, v11, s0
	v_cmp_lt_u16_e64 s0, v4, v5
	v_perm_b32 v6, v3, v3, 0x7050604
	v_alignbit_b32 v11, v5, v5, 16
	s_delay_alu instid0(VALU_DEP_3)
	v_cndmask_b32_e64 v1, v1, v9, s0
	v_cmp_lt_u16_e64 s1, v10, v8
	v_perm_b32 v8, v10, v2, 0x7060302
	v_alignbit_b32 v9, v7, v7, 16
	v_cndmask_b32_e64 v5, v5, v11, s0
	v_lshlrev_b16 v4, 8, v1
	s_delay_alu instid0(VALU_DEP_4) | instskip(NEXT) | instid1(VALU_DEP_1)
	v_dual_cndmask_b32 v3, v3, v6, s1 :: v_dual_cndmask_b32 v8, v10, v8, s1
	v_dual_cndmask_b32 v7, v7, v9 :: v_dual_lshrrev_b32 v6, 16, v3
	v_perm_b32 v12, v3, v1, 0x3020107
	s_delay_alu instid0(VALU_DEP_2) | instskip(NEXT) | instid1(VALU_DEP_3)
	v_perm_b32 v9, v7, v8, 0x7060302
	v_bitop3_b16 v4, v6, v4, 0xff bitop3:0xec
	v_lshrrev_b32_e32 v6, 16, v8
	s_delay_alu instid0(VALU_DEP_2) | instskip(NEXT) | instid1(VALU_DEP_2)
	v_lshlrev_b32_e32 v4, 16, v4
	v_cmp_lt_u16_e32 vcc_lo, v7, v6
	s_delay_alu instid0(VALU_DEP_2) | instskip(NEXT) | instid1(VALU_DEP_1)
	v_and_or_b32 v4, 0xffff, v3, v4
	v_cndmask_b32_e32 v6, v3, v4, vcc_lo
	v_cndmask_b32_e32 v4, v7, v9, vcc_lo
	v_perm_b32 v9, v10, v2, 0x5040100
	v_cndmask_b32_e32 v1, v1, v12, vcc_lo
	v_perm_b32 v7, v7, v8, 0x5040100
	s_delay_alu instid0(VALU_DEP_4)
	v_lshrrev_b32_e32 v3, 16, v4
	v_perm_b32 v10, v5, v4, 0x5040100
	v_perm_b32 v12, v5, v4, 0x7060302
	v_cndmask_b32_e64 v2, v2, v9, s1
	v_perm_b32 v11, v1, v1, 0x7050604
	v_cmp_lt_u16_e64 s0, v5, v3
	s_delay_alu instid0(VALU_DEP_1) | instskip(NEXT) | instid1(VALU_DEP_3)
	v_dual_cndmask_b32 v3, v8, v7, vcc_lo :: v_dual_cndmask_b32 v5, v5, v12, s0
	v_dual_cndmask_b32 v7, v1, v11, s0 :: v_dual_cndmask_b32 v4, v4, v10, s0
	s_clause 0x1
	global_store_b128 v0, v[2:5], s[4:5] scale_offset
	global_store_b64 v0, v[6:7], s[2:3] scale_offset
	s_endpgm
	.section	.rodata,"a",@progbits
	.p2align	6, 0x0
	.amdhsa_kernel _Z16sort_keys_valuesILj256ELj8EtcN10test_utils4lessEEvPT1_PT2_T3_
		.amdhsa_group_segment_fixed_size 0
		.amdhsa_private_segment_fixed_size 0
		.amdhsa_kernarg_size 20
		.amdhsa_user_sgpr_count 2
		.amdhsa_user_sgpr_dispatch_ptr 0
		.amdhsa_user_sgpr_queue_ptr 0
		.amdhsa_user_sgpr_kernarg_segment_ptr 1
		.amdhsa_user_sgpr_dispatch_id 0
		.amdhsa_user_sgpr_kernarg_preload_length 0
		.amdhsa_user_sgpr_kernarg_preload_offset 0
		.amdhsa_user_sgpr_private_segment_size 0
		.amdhsa_wavefront_size32 1
		.amdhsa_uses_dynamic_stack 0
		.amdhsa_enable_private_segment 0
		.amdhsa_system_sgpr_workgroup_id_x 1
		.amdhsa_system_sgpr_workgroup_id_y 0
		.amdhsa_system_sgpr_workgroup_id_z 0
		.amdhsa_system_sgpr_workgroup_info 0
		.amdhsa_system_vgpr_workitem_id 0
		.amdhsa_next_free_vgpr 14
		.amdhsa_next_free_sgpr 7
		.amdhsa_named_barrier_count 0
		.amdhsa_reserve_vcc 1
		.amdhsa_float_round_mode_32 0
		.amdhsa_float_round_mode_16_64 0
		.amdhsa_float_denorm_mode_32 3
		.amdhsa_float_denorm_mode_16_64 3
		.amdhsa_fp16_overflow 0
		.amdhsa_memory_ordered 1
		.amdhsa_forward_progress 1
		.amdhsa_inst_pref_size 18
		.amdhsa_round_robin_scheduling 0
		.amdhsa_exception_fp_ieee_invalid_op 0
		.amdhsa_exception_fp_denorm_src 0
		.amdhsa_exception_fp_ieee_div_zero 0
		.amdhsa_exception_fp_ieee_overflow 0
		.amdhsa_exception_fp_ieee_underflow 0
		.amdhsa_exception_fp_ieee_inexact 0
		.amdhsa_exception_int_div_zero 0
	.end_amdhsa_kernel
	.section	.text._Z16sort_keys_valuesILj256ELj8EtcN10test_utils4lessEEvPT1_PT2_T3_,"axG",@progbits,_Z16sort_keys_valuesILj256ELj8EtcN10test_utils4lessEEvPT1_PT2_T3_,comdat
.Lfunc_end21:
	.size	_Z16sort_keys_valuesILj256ELj8EtcN10test_utils4lessEEvPT1_PT2_T3_, .Lfunc_end21-_Z16sort_keys_valuesILj256ELj8EtcN10test_utils4lessEEvPT1_PT2_T3_
                                        ; -- End function
	.set _Z16sort_keys_valuesILj256ELj8EtcN10test_utils4lessEEvPT1_PT2_T3_.num_vgpr, 14
	.set _Z16sort_keys_valuesILj256ELj8EtcN10test_utils4lessEEvPT1_PT2_T3_.num_agpr, 0
	.set _Z16sort_keys_valuesILj256ELj8EtcN10test_utils4lessEEvPT1_PT2_T3_.numbered_sgpr, 7
	.set _Z16sort_keys_valuesILj256ELj8EtcN10test_utils4lessEEvPT1_PT2_T3_.num_named_barrier, 0
	.set _Z16sort_keys_valuesILj256ELj8EtcN10test_utils4lessEEvPT1_PT2_T3_.private_seg_size, 0
	.set _Z16sort_keys_valuesILj256ELj8EtcN10test_utils4lessEEvPT1_PT2_T3_.uses_vcc, 1
	.set _Z16sort_keys_valuesILj256ELj8EtcN10test_utils4lessEEvPT1_PT2_T3_.uses_flat_scratch, 0
	.set _Z16sort_keys_valuesILj256ELj8EtcN10test_utils4lessEEvPT1_PT2_T3_.has_dyn_sized_stack, 0
	.set _Z16sort_keys_valuesILj256ELj8EtcN10test_utils4lessEEvPT1_PT2_T3_.has_recursion, 0
	.set _Z16sort_keys_valuesILj256ELj8EtcN10test_utils4lessEEvPT1_PT2_T3_.has_indirect_call, 0
	.section	.AMDGPU.csdata,"",@progbits
; Kernel info:
; codeLenInByte = 2204
; TotalNumSgprs: 9
; NumVgprs: 14
; ScratchSize: 0
; MemoryBound: 0
; FloatMode: 240
; IeeeMode: 1
; LDSByteSize: 0 bytes/workgroup (compile time only)
; SGPRBlocks: 0
; VGPRBlocks: 0
; NumSGPRsForWavesPerEU: 9
; NumVGPRsForWavesPerEU: 14
; NamedBarCnt: 0
; Occupancy: 16
; WaveLimiterHint : 0
; COMPUTE_PGM_RSRC2:SCRATCH_EN: 0
; COMPUTE_PGM_RSRC2:USER_SGPR: 2
; COMPUTE_PGM_RSRC2:TRAP_HANDLER: 0
; COMPUTE_PGM_RSRC2:TGID_X_EN: 1
; COMPUTE_PGM_RSRC2:TGID_Y_EN: 0
; COMPUTE_PGM_RSRC2:TGID_Z_EN: 0
; COMPUTE_PGM_RSRC2:TIDIG_COMP_CNT: 0
	.section	.text._Z16sort_keys_valuesILj256ELj7EisN10test_utils4lessEEvPT1_PT2_T3_,"axG",@progbits,_Z16sort_keys_valuesILj256ELj7EisN10test_utils4lessEEvPT1_PT2_T3_,comdat
	.protected	_Z16sort_keys_valuesILj256ELj7EisN10test_utils4lessEEvPT1_PT2_T3_ ; -- Begin function _Z16sort_keys_valuesILj256ELj7EisN10test_utils4lessEEvPT1_PT2_T3_
	.globl	_Z16sort_keys_valuesILj256ELj7EisN10test_utils4lessEEvPT1_PT2_T3_
	.p2align	8
	.type	_Z16sort_keys_valuesILj256ELj7EisN10test_utils4lessEEvPT1_PT2_T3_,@function
_Z16sort_keys_valuesILj256ELj7EisN10test_utils4lessEEvPT1_PT2_T3_: ; @_Z16sort_keys_valuesILj256ELj7EisN10test_utils4lessEEvPT1_PT2_T3_
; %bb.0:
	s_load_b128 s[0:3], s[0:1], 0x0
	s_bfe_u32 s4, ttmp6, 0x4000c
	s_and_b32 s5, ttmp6, 15
	s_add_co_i32 s4, s4, 1
	s_getreg_b32 s6, hwreg(HW_REG_IB_STS2, 6, 4)
	s_mul_i32 s4, ttmp9, s4
	v_mul_u32_u24_e32 v0, 7, v0
	s_add_co_i32 s4, s5, s4
	s_cmp_eq_u32 s6, 0
	s_mov_b32 s5, 0
	s_cselect_b32 s4, ttmp9, s4
	v_dual_lshlrev_b32 v8, 2, v0 :: v_dual_lshlrev_b32 v10, 1, v0
	s_mulk_i32 s4, 0x700
	s_delay_alu instid0(SALU_CYCLE_1)
	s_lshl_b64 s[6:7], s[4:5], 1
	s_lshl_b64 s[4:5], s[4:5], 2
	s_wait_kmcnt 0x0
	s_add_nc_u64 s[2:3], s[2:3], s[6:7]
	s_add_nc_u64 s[4:5], s[0:1], s[4:5]
	global_load_b96 v[20:22], v10, s[2:3]
	s_clause 0x1
	global_load_b128 v[16:19], v8, s[4:5]
	global_load_b96 v[2:4], v8, s[4:5] offset:16
	global_load_u16 v6, v0, s[2:3] offset:12 scale_offset
	s_wait_loadcnt 0x3
	s_wait_xcnt 0x0
	v_alignbit_b32 v0, v20, v20, 16
	s_wait_loadcnt 0x2
	v_cmp_lt_i32_e64 s0, v19, v18
	v_cmp_lt_i32_e32 vcc_lo, v17, v16
	v_alignbit_b32 v11, v21, v21, 16
	v_alignbit_b32 v15, v22, v22, 16
	s_wait_loadcnt 0x1
	v_cmp_lt_i32_e64 s1, v3, v2
	v_dual_cndmask_b32 v9, v19, v18, s0 :: v_dual_min_i32 v14, v19, v18
	v_cndmask_b32_e32 v7, v20, v0, vcc_lo
	v_dual_cndmask_b32 v0, v16, v17 :: v_dual_cndmask_b32 v1, v17, v16
	s_delay_alu instid0(VALU_DEP_4) | instskip(NEXT) | instid1(VALU_DEP_4)
	v_dual_cndmask_b32 v12, v3, v2, s1 :: v_dual_cndmask_b32 v5, v18, v19, s0
	v_dual_cndmask_b32 v13, v21, v11, s0 :: v_dual_mov_b32 v11, v14
	v_cndmask_b32_e64 v2, v2, v3, s1
	v_cndmask_b32_e64 v3, v22, v15, s1
	s_mov_b32 s0, exec_lo
	v_cmpx_lt_i32_e64 v14, v1
	s_cbranch_execz .LBB22_2
; %bb.1:
	v_perm_b32 v15, v13, v7, 0x5040100
	s_wait_loadcnt 0x0
	v_and_b32_e32 v6, 0xffff, v6
	v_perm_b32 v13, v13, v7, 0x7060302
	v_dual_mov_b32 v5, v1 :: v_dual_mov_b32 v11, v1
	v_dual_mov_b32 v1, v14 :: v_dual_mov_b32 v7, v15
.LBB22_2:
	s_or_b32 exec_lo, exec_lo, s0
	v_cmp_lt_i32_e32 vcc_lo, v2, v9
	v_perm_b32 v14, v3, v13, 0x7060302
	s_wait_loadcnt 0x0
	v_and_b32_e32 v16, 0xffff, v6
	v_cmp_lt_i32_e64 s0, v4, v12
	s_delay_alu instid0(VALU_DEP_3) | instskip(SKIP_1) | instid1(VALU_DEP_4)
	v_dual_cndmask_b32 v15, v2, v9 :: v_dual_cndmask_b32 v14, v3, v14
	v_perm_b32 v3, v3, v13, 0x5040100
	v_cndmask_b32_e32 v16, v16, v6, vcc_lo
	s_delay_alu instid0(VALU_DEP_4) | instskip(NEXT) | instid1(VALU_DEP_4)
	v_dual_cndmask_b32 v6, v4, v12, s0 :: v_dual_cndmask_b32 v17, v9, v2, vcc_lo
	v_alignbit_b32 v19, s0, v14, 16
	s_delay_alu instid0(VALU_DEP_4) | instskip(NEXT) | instid1(VALU_DEP_4)
	v_cndmask_b32_e32 v18, v13, v3, vcc_lo
	v_perm_b32 v20, v16, v14, 0x5040100
	v_cndmask_b32_e64 v4, v12, v4, s0
	v_mov_b32_e32 v12, v0
	s_delay_alu instid0(VALU_DEP_3)
	v_dual_cndmask_b32 v13, v16, v19, s0 :: v_dual_cndmask_b32 v16, v14, v20, s0
	v_mov_b32_e32 v14, v1
	s_mov_b32 s0, exec_lo
	v_cmpx_lt_i32_e64 v1, v0
; %bb.3:
	v_dual_mov_b32 v2, v0 :: v_dual_mov_b32 v12, v1
	v_alignbit_b32 v7, v7, v7, 16
	v_dual_mov_b32 v14, v0 :: v_dual_mov_b32 v0, v1
	s_delay_alu instid0(VALU_DEP_3)
	v_mov_b32_e32 v1, v2
; %bb.4:
	s_or_b32 exec_lo, exec_lo, s0
	v_cmp_lt_i32_e32 vcc_lo, v17, v11
	v_mov_b32_e32 v9, 0
	v_alignbit_b32 v19, v18, v18, 16
	v_cmp_lt_i32_e64 s0, v4, v15
	v_alignbit_b32 v20, v16, v16, 16
	v_dual_cndmask_b32 v3, v17, v11, vcc_lo :: v_dual_min_i32 v11, v17, v11
	s_delay_alu instid0(VALU_DEP_4) | instskip(NEXT) | instid1(VALU_DEP_4)
	v_dual_cndmask_b32 v2, v5, v17, vcc_lo :: v_dual_cndmask_b32 v18, v18, v19, vcc_lo
	v_dual_cndmask_b32 v5, v4, v15, s0 :: v_dual_cndmask_b32 v4, v15, v4, s0
	s_delay_alu instid0(VALU_DEP_3)
	v_dual_cndmask_b32 v15, v16, v20, s0 :: v_dual_mov_b32 v17, v11
	s_mov_b32 s0, exec_lo
	v_cmpx_lt_i32_e64 v11, v14
; %bb.5:
	v_perm_b32 v16, v18, v7, 0x5040100
	v_and_b32_e32 v13, 0xffff, v13
	v_perm_b32 v18, v18, v7, 0x7060302
	v_dual_mov_b32 v1, v11 :: v_dual_mov_b32 v2, v14
	v_dual_mov_b32 v17, v14 :: v_dual_mov_b32 v14, v11
	v_mov_b32_e32 v7, v16
; %bb.6:
	s_or_b32 exec_lo, exec_lo, s0
	v_cmp_lt_i32_e32 vcc_lo, v4, v3
	v_perm_b32 v16, v15, v18, 0x7060302
	v_and_b32_e32 v19, 0xffff, v13
	v_perm_b32 v20, v15, v18, 0x5040100
	v_cmp_lt_i32_e64 s0, v6, v5
	v_dual_mov_b32 v11, v9 :: v_dual_cndmask_b32 v21, v4, v3, vcc_lo
	v_cndmask_b32_e32 v16, v15, v16, vcc_lo
	s_delay_alu instid0(VALU_DEP_4) | instskip(NEXT) | instid1(VALU_DEP_4)
	v_dual_cndmask_b32 v13, v19, v13 :: v_dual_cndmask_b32 v18, v18, v20
	v_dual_cndmask_b32 v3, v3, v4, vcc_lo :: v_dual_cndmask_b32 v15, v6, v5, s0
	v_cndmask_b32_e64 v5, v5, v6, s0
	s_delay_alu instid0(VALU_DEP_4) | instskip(NEXT) | instid1(VALU_DEP_4)
	v_alignbit_b32 v19, s0, v16, 16
	v_perm_b32 v20, v13, v16, 0x5040100
	s_delay_alu instid0(VALU_DEP_4) | instskip(NEXT) | instid1(VALU_DEP_2)
	v_dual_mov_b32 v4, v21 :: v_dual_mov_b32 v6, v15
	v_dual_cndmask_b32 v15, v13, v19, s0 :: v_dual_cndmask_b32 v19, v16, v20, s0
	v_mov_b32_e32 v16, v12
	s_mov_b32 s0, exec_lo
	v_cmpx_lt_i32_e64 v14, v12
; %bb.7:
	v_alignbit_b32 v7, v7, v7, 16
	v_dual_mov_b32 v0, v14 :: v_dual_mov_b32 v1, v12
	v_dual_mov_b32 v16, v14 :: v_dual_mov_b32 v14, v12
; %bb.8:
	s_or_b32 exec_lo, exec_lo, s0
	v_cmp_lt_i32_e32 vcc_lo, v3, v17
	v_alignbit_b32 v20, v18, v18, 16
	v_cmp_lt_i32_e64 s0, v5, v4
	v_add_nc_u64_e32 v[12:13], s[4:5], v[8:9]
	v_add_nc_u64_e32 v[8:9], s[2:3], v[10:11]
	v_dual_cndmask_b32 v11, v3, v17 :: v_dual_cndmask_b32 v2, v2, v3
	v_dual_cndmask_b32 v10, v18, v20, vcc_lo :: v_dual_min_i32 v18, v3, v17
	v_dual_cndmask_b32 v20, v5, v4, s0 :: v_dual_cndmask_b32 v4, v4, v5, s0
	v_alignbit_b32 v21, v19, v19, 16
	s_delay_alu instid0(VALU_DEP_3) | instskip(NEXT) | instid1(VALU_DEP_2)
	v_dual_mov_b32 v3, v11 :: v_dual_mov_b32 v11, v18
	v_dual_mov_b32 v5, v20 :: v_dual_cndmask_b32 v17, v19, v21, s0
	s_mov_b32 s0, exec_lo
	v_cmpx_lt_i32_e64 v18, v14
; %bb.9:
	v_perm_b32 v19, v10, v7, 0x5040100
	v_and_b32_e32 v15, 0xffff, v15
	v_perm_b32 v10, v10, v7, 0x7060302
	v_dual_mov_b32 v1, v18 :: v_dual_mov_b32 v2, v14
	v_dual_mov_b32 v11, v14 :: v_dual_mov_b32 v14, v18
	v_mov_b32_e32 v7, v19
; %bb.10:
	s_or_b32 exec_lo, exec_lo, s0
	v_cmp_lt_i32_e32 vcc_lo, v4, v3
	v_perm_b32 v18, v17, v10, 0x5040100
	v_cmp_lt_i32_e64 s0, v6, v5
	v_dual_cndmask_b32 v19, v4, v3 :: v_dual_cndmask_b32 v20, v3, v4
	v_and_b32_e32 v3, 0xffff, v15
	v_perm_b32 v4, v17, v10, 0x7060302
	s_delay_alu instid0(VALU_DEP_1) | instskip(NEXT) | instid1(VALU_DEP_1)
	v_dual_cndmask_b32 v3, v3, v15 :: v_dual_cndmask_b32 v4, v17, v4
	v_perm_b32 v15, v3, v4, 0x5040100
	v_alignbit_b32 v17, s0, v4, 16
	v_cndmask_b32_e32 v10, v10, v18, vcc_lo
	v_dual_cndmask_b32 v18, v6, v5, s0 :: v_dual_cndmask_b32 v5, v5, v6, s0
	v_cmp_lt_i32_e32 vcc_lo, v14, v16
	v_alignbit_b32 v6, v7, v7, 16
	v_dual_cndmask_b32 v15, v4, v15, s0 :: v_dual_cndmask_b32 v21, v3, v17, s0
	s_delay_alu instid0(VALU_DEP_4) | instskip(SKIP_1) | instid1(VALU_DEP_4)
	v_cmp_lt_i32_e64 s0, v5, v19
	v_dual_cndmask_b32 v1, v1, v16 :: v_dual_cndmask_b32 v0, v0, v14
	v_cndmask_b32_e32 v4, v7, v6, vcc_lo
	v_cmp_lt_i32_e32 vcc_lo, v20, v11
	v_alignbit_b32 v6, v10, v10, 16
	v_alignbit_b32 v7, v15, v15, 16
	v_dual_cndmask_b32 v17, v5, v19, s0 :: v_dual_cndmask_b32 v16, v19, v5, s0
	v_dual_cndmask_b32 v3, v20, v11 :: v_dual_cndmask_b32 v2, v2, v20
	s_delay_alu instid0(VALU_DEP_3)
	v_dual_cndmask_b32 v5, v10, v6, vcc_lo :: v_dual_cndmask_b32 v6, v15, v7, s0
	s_clause 0x1
	global_store_b128 v[12:13], v[0:3], off
	global_store_b96 v[12:13], v[16:18], off offset:16
	s_clause 0x1
	global_store_b16 v[8:9], v21, off offset:12
	global_store_b96 v[8:9], v[4:6], off
	s_endpgm
	.section	.rodata,"a",@progbits
	.p2align	6, 0x0
	.amdhsa_kernel _Z16sort_keys_valuesILj256ELj7EisN10test_utils4lessEEvPT1_PT2_T3_
		.amdhsa_group_segment_fixed_size 0
		.amdhsa_private_segment_fixed_size 0
		.amdhsa_kernarg_size 20
		.amdhsa_user_sgpr_count 2
		.amdhsa_user_sgpr_dispatch_ptr 0
		.amdhsa_user_sgpr_queue_ptr 0
		.amdhsa_user_sgpr_kernarg_segment_ptr 1
		.amdhsa_user_sgpr_dispatch_id 0
		.amdhsa_user_sgpr_kernarg_preload_length 0
		.amdhsa_user_sgpr_kernarg_preload_offset 0
		.amdhsa_user_sgpr_private_segment_size 0
		.amdhsa_wavefront_size32 1
		.amdhsa_uses_dynamic_stack 0
		.amdhsa_enable_private_segment 0
		.amdhsa_system_sgpr_workgroup_id_x 1
		.amdhsa_system_sgpr_workgroup_id_y 0
		.amdhsa_system_sgpr_workgroup_id_z 0
		.amdhsa_system_sgpr_workgroup_info 0
		.amdhsa_system_vgpr_workitem_id 0
		.amdhsa_next_free_vgpr 23
		.amdhsa_next_free_sgpr 8
		.amdhsa_named_barrier_count 0
		.amdhsa_reserve_vcc 1
		.amdhsa_float_round_mode_32 0
		.amdhsa_float_round_mode_16_64 0
		.amdhsa_float_denorm_mode_32 3
		.amdhsa_float_denorm_mode_16_64 3
		.amdhsa_fp16_overflow 0
		.amdhsa_memory_ordered 1
		.amdhsa_forward_progress 1
		.amdhsa_inst_pref_size 11
		.amdhsa_round_robin_scheduling 0
		.amdhsa_exception_fp_ieee_invalid_op 0
		.amdhsa_exception_fp_denorm_src 0
		.amdhsa_exception_fp_ieee_div_zero 0
		.amdhsa_exception_fp_ieee_overflow 0
		.amdhsa_exception_fp_ieee_underflow 0
		.amdhsa_exception_fp_ieee_inexact 0
		.amdhsa_exception_int_div_zero 0
	.end_amdhsa_kernel
	.section	.text._Z16sort_keys_valuesILj256ELj7EisN10test_utils4lessEEvPT1_PT2_T3_,"axG",@progbits,_Z16sort_keys_valuesILj256ELj7EisN10test_utils4lessEEvPT1_PT2_T3_,comdat
.Lfunc_end22:
	.size	_Z16sort_keys_valuesILj256ELj7EisN10test_utils4lessEEvPT1_PT2_T3_, .Lfunc_end22-_Z16sort_keys_valuesILj256ELj7EisN10test_utils4lessEEvPT1_PT2_T3_
                                        ; -- End function
	.set _Z16sort_keys_valuesILj256ELj7EisN10test_utils4lessEEvPT1_PT2_T3_.num_vgpr, 23
	.set _Z16sort_keys_valuesILj256ELj7EisN10test_utils4lessEEvPT1_PT2_T3_.num_agpr, 0
	.set _Z16sort_keys_valuesILj256ELj7EisN10test_utils4lessEEvPT1_PT2_T3_.numbered_sgpr, 8
	.set _Z16sort_keys_valuesILj256ELj7EisN10test_utils4lessEEvPT1_PT2_T3_.num_named_barrier, 0
	.set _Z16sort_keys_valuesILj256ELj7EisN10test_utils4lessEEvPT1_PT2_T3_.private_seg_size, 0
	.set _Z16sort_keys_valuesILj256ELj7EisN10test_utils4lessEEvPT1_PT2_T3_.uses_vcc, 1
	.set _Z16sort_keys_valuesILj256ELj7EisN10test_utils4lessEEvPT1_PT2_T3_.uses_flat_scratch, 0
	.set _Z16sort_keys_valuesILj256ELj7EisN10test_utils4lessEEvPT1_PT2_T3_.has_dyn_sized_stack, 0
	.set _Z16sort_keys_valuesILj256ELj7EisN10test_utils4lessEEvPT1_PT2_T3_.has_recursion, 0
	.set _Z16sort_keys_valuesILj256ELj7EisN10test_utils4lessEEvPT1_PT2_T3_.has_indirect_call, 0
	.section	.AMDGPU.csdata,"",@progbits
; Kernel info:
; codeLenInByte = 1324
; TotalNumSgprs: 10
; NumVgprs: 23
; ScratchSize: 0
; MemoryBound: 0
; FloatMode: 240
; IeeeMode: 1
; LDSByteSize: 0 bytes/workgroup (compile time only)
; SGPRBlocks: 0
; VGPRBlocks: 1
; NumSGPRsForWavesPerEU: 10
; NumVGPRsForWavesPerEU: 23
; NamedBarCnt: 0
; Occupancy: 16
; WaveLimiterHint : 0
; COMPUTE_PGM_RSRC2:SCRATCH_EN: 0
; COMPUTE_PGM_RSRC2:USER_SGPR: 2
; COMPUTE_PGM_RSRC2:TRAP_HANDLER: 0
; COMPUTE_PGM_RSRC2:TGID_X_EN: 1
; COMPUTE_PGM_RSRC2:TGID_Y_EN: 0
; COMPUTE_PGM_RSRC2:TGID_Z_EN: 0
; COMPUTE_PGM_RSRC2:TIDIG_COMP_CNT: 0
	.section	.text._Z16sort_keys_valuesILj256ELj6EfcN10test_utils7greaterEEvPT1_PT2_T3_,"axG",@progbits,_Z16sort_keys_valuesILj256ELj6EfcN10test_utils7greaterEEvPT1_PT2_T3_,comdat
	.protected	_Z16sort_keys_valuesILj256ELj6EfcN10test_utils7greaterEEvPT1_PT2_T3_ ; -- Begin function _Z16sort_keys_valuesILj256ELj6EfcN10test_utils7greaterEEvPT1_PT2_T3_
	.globl	_Z16sort_keys_valuesILj256ELj6EfcN10test_utils7greaterEEvPT1_PT2_T3_
	.p2align	8
	.type	_Z16sort_keys_valuesILj256ELj6EfcN10test_utils7greaterEEvPT1_PT2_T3_,@function
_Z16sort_keys_valuesILj256ELj6EfcN10test_utils7greaterEEvPT1_PT2_T3_: ; @_Z16sort_keys_valuesILj256ELj6EfcN10test_utils7greaterEEvPT1_PT2_T3_
; %bb.0:
	s_load_b128 s[0:3], s[0:1], 0x0
	s_bfe_u32 s4, ttmp6, 0x4000c
	s_and_b32 s5, ttmp6, 15
	s_add_co_i32 s4, s4, 1
	s_getreg_b32 s6, hwreg(HW_REG_IB_STS2, 6, 4)
	s_mul_i32 s4, ttmp9, s4
	v_mul_u32_u24_e32 v6, 6, v0
	s_add_co_i32 s5, s5, s4
	s_cmp_eq_u32 s6, 0
	s_mov_b32 s7, 0
	s_cselect_b32 s4, ttmp9, s5
	s_delay_alu instid0(SALU_CYCLE_1)
	s_mul_i32 s6, s4, 0x600
	s_wait_kmcnt 0x0
	s_add_nc_u64 s[4:5], s[2:3], s[6:7]
	s_lshl_b64 s[2:3], s[6:7], 2
	global_load_b32 v7, v6, s[4:5]
	v_lshlrev_b32_e32 v8, 2, v6
	s_add_nc_u64 s[6:7], s[0:1], s[2:3]
	s_wait_loadcnt 0x0
	v_lshrrev_b32_e32 v10, 16, v7
	global_load_b128 v[0:3], v8, s[6:7]
	global_load_u16 v9, v6, s[4:5] offset:4
	global_load_b64 v[4:5], v8, s[6:7] offset:16
	v_perm_b32 v11, 0, v7, 0xc0c0001
	v_perm_b32 v10, 0, v10, 0xc0c0001
	s_delay_alu instid0(VALU_DEP_1)
	v_lshlrev_b32_e32 v10, 16, v10
	s_wait_loadcnt 0x2
	v_cmp_gt_f32_e32 vcc_lo, v1, v0
	v_cmp_gt_f32_e64 s0, v3, v2
	s_wait_loadcnt 0x0
	v_cmp_gt_f32_e64 s1, v5, v4
	v_cndmask_b32_e32 v11, v7, v11, vcc_lo
	s_delay_alu instid0(VALU_DEP_1) | instskip(SKIP_2) | instid1(VALU_DEP_2)
	v_bfi_b32 v7, 0xffff, v11, v7
	v_and_or_b32 v10, 0xffff, v11, v10
	v_dual_cndmask_b32 v11, v1, v0 :: v_dual_cndmask_b32 v0, v0, v1
	v_cndmask_b32_e64 v7, v7, v10, s0
	v_and_b32_e32 v10, 0xffff, v9
	v_perm_b32 v9, 0, v9, 0xc0c0001
	s_delay_alu instid0(VALU_DEP_3) | instskip(SKIP_1) | instid1(VALU_DEP_1)
	v_perm_b32 v13, v7, v7, 0x7050604
	v_dual_cndmask_b32 v12, v2, v3, s0 :: v_dual_cndmask_b32 v2, v3, v2, s0
	v_cmp_gt_f32_e64 s2, v12, v11
	s_delay_alu instid0(VALU_DEP_1) | instskip(SKIP_1) | instid1(VALU_DEP_2)
	v_cndmask_b32_e64 v7, v7, v13, s2
	v_dual_cndmask_b32 v9, v10, v9, s1 :: v_dual_cndmask_b32 v1, v11, v12, s2
	v_lshrrev_b32_e32 v13, 16, v7
	s_delay_alu instid0(VALU_DEP_2) | instskip(NEXT) | instid1(VALU_DEP_3)
	v_lshlrev_b16 v10, 8, v9
	v_cmp_gt_f32_e32 vcc_lo, v1, v0
	s_delay_alu instid0(VALU_DEP_2) | instskip(SKIP_1) | instid1(VALU_DEP_2)
	v_bitop3_b16 v10, v13, v10, 0xff bitop3:0xec
	v_dual_cndmask_b32 v13, v4, v5, s1 :: v_dual_cndmask_b32 v4, v5, v4, s1
	v_lshlrev_b32_e32 v10, 16, v10
	s_delay_alu instid0(VALU_DEP_2) | instskip(SKIP_1) | instid1(VALU_DEP_3)
	v_cmp_gt_f32_e64 s0, v13, v2
	v_cndmask_b32_e64 v11, v12, v11, s2
	v_and_or_b32 v3, 0xffff, v7, v10
	s_delay_alu instid0(VALU_DEP_1) | instskip(NEXT) | instid1(VALU_DEP_1)
	v_dual_cndmask_b32 v12, v2, v13, s0 :: v_dual_cndmask_b32 v3, v7, v3, s0
	v_cmp_gt_f32_e64 s1, v12, v11
	v_dual_cndmask_b32 v2, v13, v2, s0 :: v_dual_lshrrev_b32 v7, 24, v7
	s_delay_alu instid0(VALU_DEP_3) | instskip(NEXT) | instid1(VALU_DEP_2)
	v_perm_b32 v10, 0, v3, 0xc0c0001
	v_bitop3_b16 v7, v7, v9, 0xff00 bitop3:0xf8
	s_delay_alu instid0(VALU_DEP_2) | instskip(NEXT) | instid1(VALU_DEP_2)
	v_and_or_b32 v10, 0xffff0000, v3, v10
	v_and_b32_e32 v7, 0xffff, v7
	s_delay_alu instid0(VALU_DEP_2) | instskip(NEXT) | instid1(VALU_DEP_1)
	v_cndmask_b32_e32 v3, v3, v10, vcc_lo
	v_lshrrev_b32_e32 v10, 16, v3
	s_delay_alu instid0(VALU_DEP_1) | instskip(NEXT) | instid1(VALU_DEP_1)
	v_perm_b32 v10, 0, v10, 0xc0c0001
	v_lshlrev_b32_e32 v10, 16, v10
	s_delay_alu instid0(VALU_DEP_1) | instskip(NEXT) | instid1(VALU_DEP_1)
	v_and_or_b32 v10, 0xffff, v3, v10
	v_dual_cndmask_b32 v7, v9, v7, s0 :: v_dual_cndmask_b32 v3, v3, v10, s1
	v_cndmask_b32_e64 v10, v11, v12, s1
	s_delay_alu instid0(VALU_DEP_2) | instskip(SKIP_1) | instid1(VALU_DEP_4)
	v_perm_b32 v5, 0, v7, 0xc0c0001
	v_cmp_gt_f32_e64 s0, v4, v2
	v_perm_b32 v13, v3, v3, 0x7050604
	v_dual_cndmask_b32 v9, v1, v0 :: v_dual_cndmask_b32 v0, v0, v1
	s_delay_alu instid0(VALU_DEP_3) | instskip(NEXT) | instid1(VALU_DEP_2)
	v_cndmask_b32_e64 v5, v7, v5, s0
	v_cmp_gt_f32_e64 s2, v10, v9
	s_delay_alu instid0(VALU_DEP_2) | instskip(NEXT) | instid1(VALU_DEP_2)
	v_lshlrev_b16 v7, 8, v5
	v_dual_cndmask_b32 v3, v3, v13, s2 :: v_dual_cndmask_b32 v11, v12, v11, s1
	v_dual_cndmask_b32 v1, v9, v10, s2 :: v_dual_cndmask_b32 v9, v10, v9, s2
	s_delay_alu instid0(VALU_DEP_2) | instskip(NEXT) | instid1(VALU_DEP_2)
	v_lshrrev_b32_e32 v13, 16, v3
	v_cmp_gt_f32_e32 vcc_lo, v1, v0
	s_delay_alu instid0(VALU_DEP_2) | instskip(NEXT) | instid1(VALU_DEP_1)
	v_bitop3_b16 v7, v13, v7, 0xff bitop3:0xec
	v_dual_cndmask_b32 v13, v2, v4, s0 :: v_dual_lshlrev_b32 v7, 16, v7
	s_delay_alu instid0(VALU_DEP_1) | instskip(NEXT) | instid1(VALU_DEP_2)
	v_cmp_gt_f32_e64 s1, v13, v11
	v_and_or_b32 v7, 0xffff, v3, v7
	s_delay_alu instid0(VALU_DEP_1) | instskip(SKIP_1) | instid1(VALU_DEP_2)
	v_cndmask_b32_e64 v7, v3, v7, s1
	v_lshrrev_b32_e32 v3, 24, v3
	v_perm_b32 v12, 0, v7, 0xc0c0001
	s_delay_alu instid0(VALU_DEP_2) | instskip(NEXT) | instid1(VALU_DEP_2)
	v_bitop3_b16 v3, v3, v5, 0xff00 bitop3:0xf8
	v_and_or_b32 v12, 0xffff0000, v7, v12
	s_delay_alu instid0(VALU_DEP_2) | instskip(SKIP_1) | instid1(VALU_DEP_2)
	v_and_b32_e32 v3, 0xffff, v3
	v_cndmask_b32_e64 v10, v11, v13, s1
	v_dual_cndmask_b32 v7, v7, v12, vcc_lo :: v_dual_cndmask_b32 v3, v5, v3, s1
	s_delay_alu instid0(VALU_DEP_1) | instskip(NEXT) | instid1(VALU_DEP_1)
	v_lshrrev_b32_e32 v12, 16, v7
	v_perm_b32 v12, 0, v12, 0xc0c0001
	s_delay_alu instid0(VALU_DEP_1) | instskip(NEXT) | instid1(VALU_DEP_1)
	v_lshlrev_b32_e32 v12, 16, v12
	v_and_or_b32 v12, 0xffff, v7, v12
	v_cndmask_b32_e64 v2, v4, v2, s0
	v_cmp_gt_f32_e64 s0, v10, v9
	s_delay_alu instid0(VALU_DEP_1) | instskip(SKIP_3) | instid1(VALU_DEP_4)
	v_dual_cndmask_b32 v4, v7, v12, s0 :: v_dual_cndmask_b32 v5, v13, v11, s1
	v_perm_b32 v7, 0, v3, 0xc0c0001
	v_cndmask_b32_e32 v11, v1, v0, vcc_lo
	v_cndmask_b32_e64 v12, v9, v10, s0
	v_perm_b32 v13, v4, v4, 0x7050604
	v_cndmask_b32_e64 v9, v10, v9, s0
	v_cndmask_b32_e32 v0, v0, v1, vcc_lo
	s_delay_alu instid0(VALU_DEP_4) | instskip(NEXT) | instid1(VALU_DEP_1)
	v_cmp_gt_f32_e64 s2, v12, v11
	v_cndmask_b32_e64 v4, v4, v13, s2
	v_cmp_gt_f32_e64 s1, v2, v5
	s_delay_alu instid0(VALU_DEP_1) | instskip(SKIP_2) | instid1(VALU_DEP_3)
	v_dual_lshrrev_b32 v13, 16, v4 :: v_dual_cndmask_b32 v3, v3, v7, s1
	v_lshrrev_b32_e32 v14, 24, v4
	v_cndmask_b32_e64 v1, v11, v12, s2
	v_lshlrev_b16 v7, 8, v3
	s_delay_alu instid0(VALU_DEP_1) | instskip(SKIP_3) | instid1(VALU_DEP_4)
	v_bitop3_b16 v7, v13, v7, 0xff bitop3:0xec
	v_cndmask_b32_e64 v13, v5, v2, s1
	v_bitop3_b16 v14, v14, v3, 0xff00 bitop3:0xf8
	v_dual_cndmask_b32 v5, v2, v5, s1 :: v_dual_cndmask_b32 v2, v12, v11, s2
	v_lshlrev_b32_e32 v7, 16, v7
	s_delay_alu instid0(VALU_DEP_4) | instskip(NEXT) | instid1(VALU_DEP_4)
	v_cmp_gt_f32_e64 s0, v13, v9
	v_and_b32_e32 v10, 0xffff, v14
	s_delay_alu instid0(VALU_DEP_3) | instskip(NEXT) | instid1(VALU_DEP_1)
	v_and_or_b32 v7, 0xffff, v4, v7
	v_dual_cndmask_b32 v10, v3, v10, s0 :: v_dual_cndmask_b32 v7, v4, v7, s0
	s_delay_alu instid0(VALU_DEP_1) | instskip(NEXT) | instid1(VALU_DEP_2)
	v_dual_cndmask_b32 v4, v13, v9, s0 :: v_dual_lshrrev_b32 v3, 8, v10
	v_lshrrev_b32_e32 v14, 16, v7
	s_delay_alu instid0(VALU_DEP_2) | instskip(SKIP_1) | instid1(VALU_DEP_3)
	v_lshlrev_b16 v15, 8, v3
	v_cndmask_b32_e64 v3, v9, v13, s0
	v_perm_b32 v7, v7, v14, 0x7000504
	s_delay_alu instid0(VALU_DEP_3)
	v_bitop3_b16 v9, v10, v15, 0xff bitop3:0xec
	s_clause 0x1
	global_store_b128 v8, v[0:3], s[6:7]
	global_store_b64 v8, v[4:5], s[6:7] offset:16
	s_clause 0x1
	global_store_b32 v6, v7, s[4:5]
	global_store_b16 v6, v9, s[4:5] offset:4
	s_endpgm
	.section	.rodata,"a",@progbits
	.p2align	6, 0x0
	.amdhsa_kernel _Z16sort_keys_valuesILj256ELj6EfcN10test_utils7greaterEEvPT1_PT2_T3_
		.amdhsa_group_segment_fixed_size 0
		.amdhsa_private_segment_fixed_size 0
		.amdhsa_kernarg_size 20
		.amdhsa_user_sgpr_count 2
		.amdhsa_user_sgpr_dispatch_ptr 0
		.amdhsa_user_sgpr_queue_ptr 0
		.amdhsa_user_sgpr_kernarg_segment_ptr 1
		.amdhsa_user_sgpr_dispatch_id 0
		.amdhsa_user_sgpr_kernarg_preload_length 0
		.amdhsa_user_sgpr_kernarg_preload_offset 0
		.amdhsa_user_sgpr_private_segment_size 0
		.amdhsa_wavefront_size32 1
		.amdhsa_uses_dynamic_stack 0
		.amdhsa_enable_private_segment 0
		.amdhsa_system_sgpr_workgroup_id_x 1
		.amdhsa_system_sgpr_workgroup_id_y 0
		.amdhsa_system_sgpr_workgroup_id_z 0
		.amdhsa_system_sgpr_workgroup_info 0
		.amdhsa_system_vgpr_workitem_id 0
		.amdhsa_next_free_vgpr 16
		.amdhsa_next_free_sgpr 8
		.amdhsa_named_barrier_count 0
		.amdhsa_reserve_vcc 1
		.amdhsa_float_round_mode_32 0
		.amdhsa_float_round_mode_16_64 0
		.amdhsa_float_denorm_mode_32 3
		.amdhsa_float_denorm_mode_16_64 3
		.amdhsa_fp16_overflow 0
		.amdhsa_memory_ordered 1
		.amdhsa_forward_progress 1
		.amdhsa_inst_pref_size 10
		.amdhsa_round_robin_scheduling 0
		.amdhsa_exception_fp_ieee_invalid_op 0
		.amdhsa_exception_fp_denorm_src 0
		.amdhsa_exception_fp_ieee_div_zero 0
		.amdhsa_exception_fp_ieee_overflow 0
		.amdhsa_exception_fp_ieee_underflow 0
		.amdhsa_exception_fp_ieee_inexact 0
		.amdhsa_exception_int_div_zero 0
	.end_amdhsa_kernel
	.section	.text._Z16sort_keys_valuesILj256ELj6EfcN10test_utils7greaterEEvPT1_PT2_T3_,"axG",@progbits,_Z16sort_keys_valuesILj256ELj6EfcN10test_utils7greaterEEvPT1_PT2_T3_,comdat
.Lfunc_end23:
	.size	_Z16sort_keys_valuesILj256ELj6EfcN10test_utils7greaterEEvPT1_PT2_T3_, .Lfunc_end23-_Z16sort_keys_valuesILj256ELj6EfcN10test_utils7greaterEEvPT1_PT2_T3_
                                        ; -- End function
	.set _Z16sort_keys_valuesILj256ELj6EfcN10test_utils7greaterEEvPT1_PT2_T3_.num_vgpr, 16
	.set _Z16sort_keys_valuesILj256ELj6EfcN10test_utils7greaterEEvPT1_PT2_T3_.num_agpr, 0
	.set _Z16sort_keys_valuesILj256ELj6EfcN10test_utils7greaterEEvPT1_PT2_T3_.numbered_sgpr, 8
	.set _Z16sort_keys_valuesILj256ELj6EfcN10test_utils7greaterEEvPT1_PT2_T3_.num_named_barrier, 0
	.set _Z16sort_keys_valuesILj256ELj6EfcN10test_utils7greaterEEvPT1_PT2_T3_.private_seg_size, 0
	.set _Z16sort_keys_valuesILj256ELj6EfcN10test_utils7greaterEEvPT1_PT2_T3_.uses_vcc, 1
	.set _Z16sort_keys_valuesILj256ELj6EfcN10test_utils7greaterEEvPT1_PT2_T3_.uses_flat_scratch, 0
	.set _Z16sort_keys_valuesILj256ELj6EfcN10test_utils7greaterEEvPT1_PT2_T3_.has_dyn_sized_stack, 0
	.set _Z16sort_keys_valuesILj256ELj6EfcN10test_utils7greaterEEvPT1_PT2_T3_.has_recursion, 0
	.set _Z16sort_keys_valuesILj256ELj6EfcN10test_utils7greaterEEvPT1_PT2_T3_.has_indirect_call, 0
	.section	.AMDGPU.csdata,"",@progbits
; Kernel info:
; codeLenInByte = 1232
; TotalNumSgprs: 10
; NumVgprs: 16
; ScratchSize: 0
; MemoryBound: 0
; FloatMode: 240
; IeeeMode: 1
; LDSByteSize: 0 bytes/workgroup (compile time only)
; SGPRBlocks: 0
; VGPRBlocks: 0
; NumSGPRsForWavesPerEU: 10
; NumVGPRsForWavesPerEU: 16
; NamedBarCnt: 0
; Occupancy: 16
; WaveLimiterHint : 0
; COMPUTE_PGM_RSRC2:SCRATCH_EN: 0
; COMPUTE_PGM_RSRC2:USER_SGPR: 2
; COMPUTE_PGM_RSRC2:TRAP_HANDLER: 0
; COMPUTE_PGM_RSRC2:TGID_X_EN: 1
; COMPUTE_PGM_RSRC2:TGID_Y_EN: 0
; COMPUTE_PGM_RSRC2:TGID_Z_EN: 0
; COMPUTE_PGM_RSRC2:TIDIG_COMP_CNT: 0
	.section	.text._Z16sort_keys_valuesILj256ELj5EtcN10test_utils4lessEEvPT1_PT2_T3_,"axG",@progbits,_Z16sort_keys_valuesILj256ELj5EtcN10test_utils4lessEEvPT1_PT2_T3_,comdat
	.protected	_Z16sort_keys_valuesILj256ELj5EtcN10test_utils4lessEEvPT1_PT2_T3_ ; -- Begin function _Z16sort_keys_valuesILj256ELj5EtcN10test_utils4lessEEvPT1_PT2_T3_
	.globl	_Z16sort_keys_valuesILj256ELj5EtcN10test_utils4lessEEvPT1_PT2_T3_
	.p2align	8
	.type	_Z16sort_keys_valuesILj256ELj5EtcN10test_utils4lessEEvPT1_PT2_T3_,@function
_Z16sort_keys_valuesILj256ELj5EtcN10test_utils4lessEEvPT1_PT2_T3_: ; @_Z16sort_keys_valuesILj256ELj5EtcN10test_utils4lessEEvPT1_PT2_T3_
; %bb.0:
	s_load_b128 s[0:3], s[0:1], 0x0
	s_bfe_u32 s4, ttmp6, 0x4000c
	s_and_b32 s5, ttmp6, 15
	s_add_co_i32 s4, s4, 1
	s_getreg_b32 s6, hwreg(HW_REG_IB_STS2, 6, 4)
	s_mul_i32 s4, ttmp9, s4
	v_mul_u32_u24_e32 v4, 5, v0
	s_add_co_i32 s4, s5, s4
	s_cmp_eq_u32 s6, 0
	s_mov_b32 s5, 0
	s_cselect_b32 s4, ttmp9, s4
	s_delay_alu instid0(SALU_CYCLE_1)
	s_mulk_i32 s4, 0x500
	s_wait_kmcnt 0x0
	s_add_nc_u64 s[2:3], s[2:3], s[4:5]
	s_lshl_b64 s[4:5], s[4:5], 1
	global_load_b32 v2, v4, s[2:3]
	v_lshlrev_b32_e32 v5, 1, v4
	s_add_nc_u64 s[4:5], s[0:1], s[4:5]
	s_wait_loadcnt 0x0
	v_lshrrev_b32_e32 v7, 8, v2
	global_load_b64 v[0:1], v5, s[4:5]
	s_clause 0x1
	global_load_u8 v3, v4, s[2:3] offset:4
	global_load_u16 v6, v4, s[4:5] offset:8 scale_offset
	v_lshlrev_b16 v8, 8, v2
	v_lshlrev_b16 v9, 8, v7
	s_delay_alu instid0(VALU_DEP_2) | instskip(NEXT) | instid1(VALU_DEP_2)
	v_bitop3_b16 v7, v7, v8, 0xff bitop3:0xec
	v_bitop3_b16 v8, v2, v9, 0xff bitop3:0xec
	s_wait_loadcnt 0x2
	v_lshrrev_b32_e32 v10, 16, v0
	v_alignbit_b32 v9, v0, v0, 16
	s_wait_loadcnt 0x1
	v_perm_b32 v3, v3, s0, 0x3020104
	s_delay_alu instid0(VALU_DEP_3) | instskip(SKIP_3) | instid1(VALU_DEP_3)
	v_cmp_lt_u16_e32 vcc_lo, v10, v0
	v_cndmask_b32_e32 v7, v8, v7, vcc_lo
	v_perm_b32 v8, v2, v2, 0xc0c0306
	v_perm_b32 v2, v2, v2, 0xc0c0207
	v_and_b32_e32 v7, 0xffff, v7
	s_delay_alu instid0(VALU_DEP_1) | instskip(NEXT) | instid1(VALU_DEP_3)
	v_lshl_or_b32 v8, v8, 16, v7
	v_lshl_or_b32 v2, v2, 16, v7
	v_lshrrev_b32_e32 v10, 16, v1
	v_alignbit_b32 v7, v1, v1, 16
	v_cndmask_b32_e32 v0, v0, v9, vcc_lo
	s_delay_alu instid0(VALU_DEP_3) | instskip(NEXT) | instid1(VALU_DEP_3)
	v_cmp_lt_u16_e32 vcc_lo, v10, v1
	v_dual_cndmask_b32 v2, v8, v2 :: v_dual_cndmask_b32 v1, v1, v7
	s_delay_alu instid0(VALU_DEP_1) | instskip(NEXT) | instid1(VALU_DEP_4)
	v_perm_b32 v7, v2, v2, 0x7050604
	v_lshrrev_b32_e32 v8, 16, v0
	s_delay_alu instid0(VALU_DEP_3) | instskip(NEXT) | instid1(VALU_DEP_2)
	v_perm_b32 v9, v1, v0, 0x7060302
	v_cmp_lt_u16_e32 vcc_lo, v1, v8
	s_delay_alu instid0(VALU_DEP_4) | instskip(SKIP_1) | instid1(VALU_DEP_2)
	v_cndmask_b32_e32 v2, v2, v7, vcc_lo
	v_lshlrev_b16 v7, 8, v3
	v_lshrrev_b32_e32 v8, 16, v2
	s_delay_alu instid0(VALU_DEP_1) | instskip(NEXT) | instid1(VALU_DEP_1)
	v_bitop3_b16 v7, v8, v7, 0xff bitop3:0xec
	v_lshlrev_b32_e32 v7, 16, v7
	s_delay_alu instid0(VALU_DEP_1) | instskip(SKIP_2) | instid1(VALU_DEP_1)
	v_and_or_b32 v7, 0xffff, v2, v7
	v_cndmask_b32_e32 v8, v1, v9, vcc_lo
	v_perm_b32 v1, v1, v0, 0x5040100
	v_dual_cndmask_b32 v0, v0, v1 :: v_dual_lshrrev_b32 v9, 16, v8
	s_wait_loadcnt 0x0
	s_delay_alu instid0(VALU_DEP_1) | instskip(NEXT) | instid1(VALU_DEP_2)
	v_cmp_lt_u16_e64 s0, v6, v9
	v_alignbit_b32 v10, v0, v0, 16
	s_delay_alu instid0(VALU_DEP_2) | instskip(NEXT) | instid1(VALU_DEP_1)
	v_cndmask_b32_e64 v7, v2, v7, s0
	v_perm_b32 v1, 0, v7, 0xc0c0001
	s_delay_alu instid0(VALU_DEP_1) | instskip(SKIP_1) | instid1(VALU_DEP_1)
	v_and_or_b32 v1, 0xffff0000, v7, v1
	v_lshrrev_b32_e32 v9, 16, v0
	v_cmp_lt_u16_e32 vcc_lo, v9, v0
	v_perm_b32 v9, v6, v8, 0x5040100
	s_delay_alu instid0(VALU_DEP_4) | instskip(NEXT) | instid1(VALU_DEP_1)
	v_dual_cndmask_b32 v1, v7, v1 :: v_dual_cndmask_b32 v10, v0, v10
	v_lshrrev_b32_e32 v7, 16, v1
	s_delay_alu instid0(VALU_DEP_1) | instskip(NEXT) | instid1(VALU_DEP_1)
	v_perm_b32 v7, 0, v7, 0xc0c0001
	v_dual_cndmask_b32 v9, v8, v9, s0 :: v_dual_lshlrev_b32 v7, 16, v7
	s_delay_alu instid0(VALU_DEP_1) | instskip(NEXT) | instid1(VALU_DEP_2)
	v_alignbit_b32 v12, v9, v9, 16
	v_and_or_b32 v7, 0xffff, v1, v7
	v_lshrrev_b32_e32 v11, 16, v9
	s_delay_alu instid0(VALU_DEP_1) | instskip(NEXT) | instid1(VALU_DEP_3)
	v_cmp_lt_u16_e32 vcc_lo, v11, v9
	v_dual_cndmask_b32 v0, v1, v7 :: v_dual_lshrrev_b32 v1, 16, v10
	v_cndmask_b32_e32 v7, v9, v12, vcc_lo
	s_delay_alu instid0(VALU_DEP_2) | instskip(NEXT) | instid1(VALU_DEP_2)
	v_perm_b32 v9, v0, v0, 0x7050604
	v_cmp_lt_u16_e32 vcc_lo, v7, v1
	s_delay_alu instid0(VALU_DEP_2) | instskip(NEXT) | instid1(VALU_DEP_1)
	v_dual_lshrrev_b32 v2, 24, v2 :: v_dual_cndmask_b32 v0, v0, v9, vcc_lo
	v_cndmask_b32_e64 v9, v3, v2, s0
	v_perm_b32 v3, v7, v10, 0x7060302
	s_delay_alu instid0(VALU_DEP_3) | instskip(NEXT) | instid1(VALU_DEP_3)
	v_lshrrev_b32_e32 v1, 16, v0
	v_lshlrev_b16 v2, 8, v9
	s_delay_alu instid0(VALU_DEP_1) | instskip(SKIP_4) | instid1(VALU_DEP_3)
	v_bitop3_b16 v1, v1, v2, 0xff bitop3:0xec
	v_bfi_b32 v2, 0xffff, v6, s0
	v_alignbit_b32 v6, s0, v8, 16
	v_cndmask_b32_e32 v3, v7, v3, vcc_lo
	v_perm_b32 v7, v7, v10, 0x5040100
	v_dual_lshlrev_b32 v1, 16, v1 :: v_dual_cndmask_b32 v2, v2, v6, s0
	s_delay_alu instid0(VALU_DEP_3) | instskip(NEXT) | instid1(VALU_DEP_2)
	v_lshrrev_b32_e32 v6, 16, v3
	v_and_or_b32 v1, 0xffff, v0, v1
	s_delay_alu instid0(VALU_DEP_2) | instskip(NEXT) | instid1(VALU_DEP_1)
	v_cmp_lt_u16_e64 s0, v2, v6
	v_dual_cndmask_b32 v6, v10, v7, vcc_lo :: v_dual_cndmask_b32 v1, v0, v1, s0
	s_delay_alu instid0(VALU_DEP_1) | instskip(NEXT) | instid1(VALU_DEP_1)
	v_perm_b32 v7, 0, v1, 0xc0c0001
	v_and_or_b32 v7, 0xffff0000, v1, v7
	s_delay_alu instid0(VALU_DEP_3) | instskip(NEXT) | instid1(VALU_DEP_1)
	v_lshrrev_b32_e32 v8, 16, v6
	v_cmp_lt_u16_e32 vcc_lo, v8, v6
	v_perm_b32 v8, v2, v3, 0x5040100
	s_delay_alu instid0(VALU_DEP_1) | instskip(SKIP_1) | instid1(VALU_DEP_2)
	v_dual_cndmask_b32 v1, v1, v7, vcc_lo :: v_dual_cndmask_b32 v8, v3, v8, s0
	v_alignbit_b32 v3, s0, v3, 16
	v_dual_lshrrev_b32 v7, 16, v1 :: v_dual_lshrrev_b32 v10, 16, v8
	s_delay_alu instid0(VALU_DEP_1) | instskip(NEXT) | instid1(VALU_DEP_2)
	v_perm_b32 v7, 0, v7, 0xc0c0001
	v_cmp_lt_u16_e64 s1, v10, v8
	v_alignbit_b32 v10, v8, v8, 16
	s_delay_alu instid0(VALU_DEP_3) | instskip(NEXT) | instid1(VALU_DEP_1)
	v_lshlrev_b32_e32 v7, 16, v7
	v_and_or_b32 v7, 0xffff, v1, v7
	s_delay_alu instid0(VALU_DEP_1) | instskip(SKIP_3) | instid1(VALU_DEP_2)
	v_cndmask_b32_e64 v7, v1, v7, s1
	v_lshlrev_b64_e32 v[0:1], 8, v[0:1]
	v_alignbit_b32 v0, v6, v6, 16
	v_dual_cndmask_b32 v12, v2, v3, s0 :: v_dual_cndmask_b32 v3, v8, v10, s1
	v_dual_cndmask_b32 v2, v6, v0 :: v_dual_lshrrev_b32 v11, 16, v7
	s_delay_alu instid0(VALU_DEP_4) | instskip(NEXT) | instid1(VALU_DEP_2)
	v_cndmask_b32_e64 v0, v9, v1, s0
	v_perm_b32 v1, v7, v11, 0x7000504
	s_clause 0x1
	global_store_b16 v4, v12, s[4:5] offset:8 scale_offset
	global_store_b64 v5, v[2:3], s[4:5]
	s_clause 0x1
	global_store_b8 v4, v0, s[2:3] offset:4
	global_store_b32 v4, v1, s[2:3]
	s_endpgm
	.section	.rodata,"a",@progbits
	.p2align	6, 0x0
	.amdhsa_kernel _Z16sort_keys_valuesILj256ELj5EtcN10test_utils4lessEEvPT1_PT2_T3_
		.amdhsa_group_segment_fixed_size 0
		.amdhsa_private_segment_fixed_size 0
		.amdhsa_kernarg_size 20
		.amdhsa_user_sgpr_count 2
		.amdhsa_user_sgpr_dispatch_ptr 0
		.amdhsa_user_sgpr_queue_ptr 0
		.amdhsa_user_sgpr_kernarg_segment_ptr 1
		.amdhsa_user_sgpr_dispatch_id 0
		.amdhsa_user_sgpr_kernarg_preload_length 0
		.amdhsa_user_sgpr_kernarg_preload_offset 0
		.amdhsa_user_sgpr_private_segment_size 0
		.amdhsa_wavefront_size32 1
		.amdhsa_uses_dynamic_stack 0
		.amdhsa_enable_private_segment 0
		.amdhsa_system_sgpr_workgroup_id_x 1
		.amdhsa_system_sgpr_workgroup_id_y 0
		.amdhsa_system_sgpr_workgroup_id_z 0
		.amdhsa_system_sgpr_workgroup_info 0
		.amdhsa_system_vgpr_workitem_id 0
		.amdhsa_next_free_vgpr 13
		.amdhsa_next_free_sgpr 7
		.amdhsa_named_barrier_count 0
		.amdhsa_reserve_vcc 1
		.amdhsa_float_round_mode_32 0
		.amdhsa_float_round_mode_16_64 0
		.amdhsa_float_denorm_mode_32 3
		.amdhsa_float_denorm_mode_16_64 3
		.amdhsa_fp16_overflow 0
		.amdhsa_memory_ordered 1
		.amdhsa_forward_progress 1
		.amdhsa_inst_pref_size 9
		.amdhsa_round_robin_scheduling 0
		.amdhsa_exception_fp_ieee_invalid_op 0
		.amdhsa_exception_fp_denorm_src 0
		.amdhsa_exception_fp_ieee_div_zero 0
		.amdhsa_exception_fp_ieee_overflow 0
		.amdhsa_exception_fp_ieee_underflow 0
		.amdhsa_exception_fp_ieee_inexact 0
		.amdhsa_exception_int_div_zero 0
	.end_amdhsa_kernel
	.section	.text._Z16sort_keys_valuesILj256ELj5EtcN10test_utils4lessEEvPT1_PT2_T3_,"axG",@progbits,_Z16sort_keys_valuesILj256ELj5EtcN10test_utils4lessEEvPT1_PT2_T3_,comdat
.Lfunc_end24:
	.size	_Z16sort_keys_valuesILj256ELj5EtcN10test_utils4lessEEvPT1_PT2_T3_, .Lfunc_end24-_Z16sort_keys_valuesILj256ELj5EtcN10test_utils4lessEEvPT1_PT2_T3_
                                        ; -- End function
	.set _Z16sort_keys_valuesILj256ELj5EtcN10test_utils4lessEEvPT1_PT2_T3_.num_vgpr, 13
	.set _Z16sort_keys_valuesILj256ELj5EtcN10test_utils4lessEEvPT1_PT2_T3_.num_agpr, 0
	.set _Z16sort_keys_valuesILj256ELj5EtcN10test_utils4lessEEvPT1_PT2_T3_.numbered_sgpr, 7
	.set _Z16sort_keys_valuesILj256ELj5EtcN10test_utils4lessEEvPT1_PT2_T3_.num_named_barrier, 0
	.set _Z16sort_keys_valuesILj256ELj5EtcN10test_utils4lessEEvPT1_PT2_T3_.private_seg_size, 0
	.set _Z16sort_keys_valuesILj256ELj5EtcN10test_utils4lessEEvPT1_PT2_T3_.uses_vcc, 1
	.set _Z16sort_keys_valuesILj256ELj5EtcN10test_utils4lessEEvPT1_PT2_T3_.uses_flat_scratch, 0
	.set _Z16sort_keys_valuesILj256ELj5EtcN10test_utils4lessEEvPT1_PT2_T3_.has_dyn_sized_stack, 0
	.set _Z16sort_keys_valuesILj256ELj5EtcN10test_utils4lessEEvPT1_PT2_T3_.has_recursion, 0
	.set _Z16sort_keys_valuesILj256ELj5EtcN10test_utils4lessEEvPT1_PT2_T3_.has_indirect_call, 0
	.section	.AMDGPU.csdata,"",@progbits
; Kernel info:
; codeLenInByte = 1056
; TotalNumSgprs: 9
; NumVgprs: 13
; ScratchSize: 0
; MemoryBound: 0
; FloatMode: 240
; IeeeMode: 1
; LDSByteSize: 0 bytes/workgroup (compile time only)
; SGPRBlocks: 0
; VGPRBlocks: 0
; NumSGPRsForWavesPerEU: 9
; NumVGPRsForWavesPerEU: 13
; NamedBarCnt: 0
; Occupancy: 16
; WaveLimiterHint : 0
; COMPUTE_PGM_RSRC2:SCRATCH_EN: 0
; COMPUTE_PGM_RSRC2:USER_SGPR: 2
; COMPUTE_PGM_RSRC2:TRAP_HANDLER: 0
; COMPUTE_PGM_RSRC2:TGID_X_EN: 1
; COMPUTE_PGM_RSRC2:TGID_Y_EN: 0
; COMPUTE_PGM_RSRC2:TGID_Z_EN: 0
; COMPUTE_PGM_RSRC2:TIDIG_COMP_CNT: 0
	.section	.text._Z16sort_keys_valuesILj256ELj4EjiN10test_utils4lessEEvPT1_PT2_T3_,"axG",@progbits,_Z16sort_keys_valuesILj256ELj4EjiN10test_utils4lessEEvPT1_PT2_T3_,comdat
	.protected	_Z16sort_keys_valuesILj256ELj4EjiN10test_utils4lessEEvPT1_PT2_T3_ ; -- Begin function _Z16sort_keys_valuesILj256ELj4EjiN10test_utils4lessEEvPT1_PT2_T3_
	.globl	_Z16sort_keys_valuesILj256ELj4EjiN10test_utils4lessEEvPT1_PT2_T3_
	.p2align	8
	.type	_Z16sort_keys_valuesILj256ELj4EjiN10test_utils4lessEEvPT1_PT2_T3_,@function
_Z16sort_keys_valuesILj256ELj4EjiN10test_utils4lessEEvPT1_PT2_T3_: ; @_Z16sort_keys_valuesILj256ELj4EjiN10test_utils4lessEEvPT1_PT2_T3_
; %bb.0:
	s_load_b128 s[0:3], s[0:1], 0x0
	s_bfe_u32 s4, ttmp6, 0x4000c
	s_and_b32 s5, ttmp6, 15
	s_add_co_i32 s4, s4, 1
	s_getreg_b32 s6, hwreg(HW_REG_IB_STS2, 6, 4)
	s_mul_i32 s4, ttmp9, s4
	s_delay_alu instid0(SALU_CYCLE_1) | instskip(SKIP_4) | instid1(SALU_CYCLE_1)
	s_add_co_i32 s5, s5, s4
	s_cmp_eq_u32 s6, 0
	s_cselect_b32 s4, ttmp9, s5
	s_mov_b32 s5, 0
	s_lshl_b32 s4, s4, 10
	s_lshl_b64 s[4:5], s[4:5], 2
	s_wait_kmcnt 0x0
	s_add_nc_u64 s[6:7], s[0:1], s[4:5]
	s_add_nc_u64 s[2:3], s[2:3], s[4:5]
	s_clause 0x1
	global_load_b128 v[2:5], v0, s[6:7] scale_offset
	global_load_b128 v[6:9], v0, s[2:3] scale_offset
	s_wait_loadcnt 0x1
	v_cmp_lt_u32_e32 vcc_lo, v3, v2
	v_cmp_lt_u32_e64 s0, v5, v4
	v_min_u32_e32 v10, v5, v4
	s_wait_loadcnt 0x0
	v_dual_cndmask_b32 v1, v6, v7, vcc_lo :: v_dual_cndmask_b32 v11, v3, v2, vcc_lo
	s_delay_alu instid0(VALU_DEP_3) | instskip(SKIP_1) | instid1(VALU_DEP_3)
	v_dual_cndmask_b32 v12, v9, v8, s0 :: v_dual_cndmask_b32 v6, v7, v6, vcc_lo
	v_dual_cndmask_b32 v3, v2, v3, vcc_lo :: v_dual_cndmask_b32 v2, v8, v9, s0
	v_cmp_lt_u32_e32 vcc_lo, v10, v11
	v_dual_cndmask_b32 v7, v4, v5, s0 :: v_dual_cndmask_b32 v4, v5, v4, s0
	v_min_u32_e32 v8, v10, v11
	s_delay_alu instid0(VALU_DEP_2) | instskip(SKIP_2) | instid1(VALU_DEP_4)
	v_dual_cndmask_b32 v9, v2, v6, vcc_lo :: v_dual_cndmask_b32 v7, v7, v11, vcc_lo
	v_cndmask_b32_e32 v5, v6, v2, vcc_lo
	v_cndmask_b32_e32 v6, v11, v10, vcc_lo
	v_cmp_lt_u32_e32 vcc_lo, v8, v3
	s_delay_alu instid0(VALU_DEP_4) | instskip(SKIP_1) | instid1(VALU_DEP_4)
	v_cmp_lt_u32_e64 s0, v4, v7
	v_min_u32_e32 v11, v4, v7
	v_dual_cndmask_b32 v10, v6, v3, vcc_lo :: v_dual_cndmask_b32 v2, v1, v5, vcc_lo
	s_delay_alu instid0(VALU_DEP_3) | instskip(SKIP_1) | instid1(VALU_DEP_3)
	v_dual_cndmask_b32 v1, v5, v1, vcc_lo :: v_dual_cndmask_b32 v13, v7, v4, s0
	v_dual_cndmask_b32 v5, v12, v9, s0 :: v_dual_cndmask_b32 v12, v9, v12, s0
	v_cmp_lt_u32_e64 s1, v11, v10
	v_dual_cndmask_b32 v6, v3, v8, vcc_lo :: v_dual_cndmask_b32 v9, v4, v7, s0
	s_delay_alu instid0(VALU_DEP_2)
	v_dual_cndmask_b32 v4, v12, v1, s1 :: v_dual_cndmask_b32 v8, v13, v10, s1
	v_dual_cndmask_b32 v7, v10, v11, s1 :: v_dual_cndmask_b32 v3, v1, v12, s1
	s_clause 0x1
	global_store_b128 v0, v[6:9], s[6:7] scale_offset
	global_store_b128 v0, v[2:5], s[2:3] scale_offset
	s_endpgm
	.section	.rodata,"a",@progbits
	.p2align	6, 0x0
	.amdhsa_kernel _Z16sort_keys_valuesILj256ELj4EjiN10test_utils4lessEEvPT1_PT2_T3_
		.amdhsa_group_segment_fixed_size 0
		.amdhsa_private_segment_fixed_size 0
		.amdhsa_kernarg_size 20
		.amdhsa_user_sgpr_count 2
		.amdhsa_user_sgpr_dispatch_ptr 0
		.amdhsa_user_sgpr_queue_ptr 0
		.amdhsa_user_sgpr_kernarg_segment_ptr 1
		.amdhsa_user_sgpr_dispatch_id 0
		.amdhsa_user_sgpr_kernarg_preload_length 0
		.amdhsa_user_sgpr_kernarg_preload_offset 0
		.amdhsa_user_sgpr_private_segment_size 0
		.amdhsa_wavefront_size32 1
		.amdhsa_uses_dynamic_stack 0
		.amdhsa_enable_private_segment 0
		.amdhsa_system_sgpr_workgroup_id_x 1
		.amdhsa_system_sgpr_workgroup_id_y 0
		.amdhsa_system_sgpr_workgroup_id_z 0
		.amdhsa_system_sgpr_workgroup_info 0
		.amdhsa_system_vgpr_workitem_id 0
		.amdhsa_next_free_vgpr 14
		.amdhsa_next_free_sgpr 8
		.amdhsa_named_barrier_count 0
		.amdhsa_reserve_vcc 1
		.amdhsa_float_round_mode_32 0
		.amdhsa_float_round_mode_16_64 0
		.amdhsa_float_denorm_mode_32 3
		.amdhsa_float_denorm_mode_16_64 3
		.amdhsa_fp16_overflow 0
		.amdhsa_memory_ordered 1
		.amdhsa_forward_progress 1
		.amdhsa_inst_pref_size 3
		.amdhsa_round_robin_scheduling 0
		.amdhsa_exception_fp_ieee_invalid_op 0
		.amdhsa_exception_fp_denorm_src 0
		.amdhsa_exception_fp_ieee_div_zero 0
		.amdhsa_exception_fp_ieee_overflow 0
		.amdhsa_exception_fp_ieee_underflow 0
		.amdhsa_exception_fp_ieee_inexact 0
		.amdhsa_exception_int_div_zero 0
	.end_amdhsa_kernel
	.section	.text._Z16sort_keys_valuesILj256ELj4EjiN10test_utils4lessEEvPT1_PT2_T3_,"axG",@progbits,_Z16sort_keys_valuesILj256ELj4EjiN10test_utils4lessEEvPT1_PT2_T3_,comdat
.Lfunc_end25:
	.size	_Z16sort_keys_valuesILj256ELj4EjiN10test_utils4lessEEvPT1_PT2_T3_, .Lfunc_end25-_Z16sort_keys_valuesILj256ELj4EjiN10test_utils4lessEEvPT1_PT2_T3_
                                        ; -- End function
	.set _Z16sort_keys_valuesILj256ELj4EjiN10test_utils4lessEEvPT1_PT2_T3_.num_vgpr, 14
	.set _Z16sort_keys_valuesILj256ELj4EjiN10test_utils4lessEEvPT1_PT2_T3_.num_agpr, 0
	.set _Z16sort_keys_valuesILj256ELj4EjiN10test_utils4lessEEvPT1_PT2_T3_.numbered_sgpr, 8
	.set _Z16sort_keys_valuesILj256ELj4EjiN10test_utils4lessEEvPT1_PT2_T3_.num_named_barrier, 0
	.set _Z16sort_keys_valuesILj256ELj4EjiN10test_utils4lessEEvPT1_PT2_T3_.private_seg_size, 0
	.set _Z16sort_keys_valuesILj256ELj4EjiN10test_utils4lessEEvPT1_PT2_T3_.uses_vcc, 1
	.set _Z16sort_keys_valuesILj256ELj4EjiN10test_utils4lessEEvPT1_PT2_T3_.uses_flat_scratch, 0
	.set _Z16sort_keys_valuesILj256ELj4EjiN10test_utils4lessEEvPT1_PT2_T3_.has_dyn_sized_stack, 0
	.set _Z16sort_keys_valuesILj256ELj4EjiN10test_utils4lessEEvPT1_PT2_T3_.has_recursion, 0
	.set _Z16sort_keys_valuesILj256ELj4EjiN10test_utils4lessEEvPT1_PT2_T3_.has_indirect_call, 0
	.section	.AMDGPU.csdata,"",@progbits
; Kernel info:
; codeLenInByte = 348
; TotalNumSgprs: 10
; NumVgprs: 14
; ScratchSize: 0
; MemoryBound: 0
; FloatMode: 240
; IeeeMode: 1
; LDSByteSize: 0 bytes/workgroup (compile time only)
; SGPRBlocks: 0
; VGPRBlocks: 0
; NumSGPRsForWavesPerEU: 10
; NumVGPRsForWavesPerEU: 14
; NamedBarCnt: 0
; Occupancy: 16
; WaveLimiterHint : 0
; COMPUTE_PGM_RSRC2:SCRATCH_EN: 0
; COMPUTE_PGM_RSRC2:USER_SGPR: 2
; COMPUTE_PGM_RSRC2:TRAP_HANDLER: 0
; COMPUTE_PGM_RSRC2:TGID_X_EN: 1
; COMPUTE_PGM_RSRC2:TGID_Y_EN: 0
; COMPUTE_PGM_RSRC2:TGID_Z_EN: 0
; COMPUTE_PGM_RSRC2:TIDIG_COMP_CNT: 0
	.section	.text._Z16sort_keys_valuesILj256ELj3EiiN10test_utils4lessEEvPT1_PT2_T3_,"axG",@progbits,_Z16sort_keys_valuesILj256ELj3EiiN10test_utils4lessEEvPT1_PT2_T3_,comdat
	.protected	_Z16sort_keys_valuesILj256ELj3EiiN10test_utils4lessEEvPT1_PT2_T3_ ; -- Begin function _Z16sort_keys_valuesILj256ELj3EiiN10test_utils4lessEEvPT1_PT2_T3_
	.globl	_Z16sort_keys_valuesILj256ELj3EiiN10test_utils4lessEEvPT1_PT2_T3_
	.p2align	8
	.type	_Z16sort_keys_valuesILj256ELj3EiiN10test_utils4lessEEvPT1_PT2_T3_,@function
_Z16sort_keys_valuesILj256ELj3EiiN10test_utils4lessEEvPT1_PT2_T3_: ; @_Z16sort_keys_valuesILj256ELj3EiiN10test_utils4lessEEvPT1_PT2_T3_
; %bb.0:
	s_load_b128 s[0:3], s[0:1], 0x0
	s_bfe_u32 s4, ttmp6, 0x4000c
	s_and_b32 s5, ttmp6, 15
	s_add_co_i32 s4, s4, 1
	s_getreg_b32 s6, hwreg(HW_REG_IB_STS2, 6, 4)
	s_mul_i32 s4, ttmp9, s4
	v_mul_u32_u24_e32 v0, 3, v0
	s_add_co_i32 s5, s5, s4
	s_cmp_eq_u32 s6, 0
	s_cselect_b32 s4, ttmp9, s5
	s_mov_b32 s5, 0
	s_mulk_i32 s4, 0x300
	v_lshlrev_b32_e32 v9, 2, v0
	s_lshl_b64 s[4:5], s[4:5], 2
	s_wait_kmcnt 0x0
	s_add_nc_u64 s[6:7], s[0:1], s[4:5]
	s_add_nc_u64 s[2:3], s[2:3], s[4:5]
	s_clause 0x1
	global_load_b96 v[0:2], v9, s[6:7]
	global_load_b96 v[4:6], v9, s[2:3]
	s_wait_loadcnt 0x1
	v_cmp_lt_i32_e32 vcc_lo, v1, v0
	s_wait_loadcnt 0x0
	v_dual_cndmask_b32 v10, v4, v5 :: v_dual_max_i32 v3, v1, v0
	v_dual_cndmask_b32 v5, v5, v4, vcc_lo :: v_dual_cndmask_b32 v11, v0, v1, vcc_lo
	v_cndmask_b32_e32 v0, v1, v0, vcc_lo
	s_delay_alu instid0(VALU_DEP_3) | instskip(SKIP_1) | instid1(VALU_DEP_2)
	v_cmp_lt_i32_e64 s0, v2, v3
	v_min_i32_e32 v1, v2, v3
	v_dual_cndmask_b32 v4, v6, v5, s0 :: v_dual_cndmask_b32 v0, v0, v2, s0
	v_cndmask_b32_e64 v5, v5, v6, s0
	s_delay_alu instid0(VALU_DEP_3) | instskip(NEXT) | instid1(VALU_DEP_2)
	v_cmp_lt_i32_e32 vcc_lo, v1, v11
	v_dual_cndmask_b32 v8, v2, v3, s0 :: v_dual_cndmask_b32 v3, v5, v10, vcc_lo
	s_delay_alu instid0(VALU_DEP_4)
	v_dual_cndmask_b32 v7, v0, v11 :: v_dual_cndmask_b32 v6, v11, v1
	v_cndmask_b32_e32 v2, v10, v5, vcc_lo
	s_clause 0x1
	global_store_b96 v9, v[6:8], s[6:7]
	global_store_b96 v9, v[2:4], s[2:3]
	s_endpgm
	.section	.rodata,"a",@progbits
	.p2align	6, 0x0
	.amdhsa_kernel _Z16sort_keys_valuesILj256ELj3EiiN10test_utils4lessEEvPT1_PT2_T3_
		.amdhsa_group_segment_fixed_size 0
		.amdhsa_private_segment_fixed_size 0
		.amdhsa_kernarg_size 20
		.amdhsa_user_sgpr_count 2
		.amdhsa_user_sgpr_dispatch_ptr 0
		.amdhsa_user_sgpr_queue_ptr 0
		.amdhsa_user_sgpr_kernarg_segment_ptr 1
		.amdhsa_user_sgpr_dispatch_id 0
		.amdhsa_user_sgpr_kernarg_preload_length 0
		.amdhsa_user_sgpr_kernarg_preload_offset 0
		.amdhsa_user_sgpr_private_segment_size 0
		.amdhsa_wavefront_size32 1
		.amdhsa_uses_dynamic_stack 0
		.amdhsa_enable_private_segment 0
		.amdhsa_system_sgpr_workgroup_id_x 1
		.amdhsa_system_sgpr_workgroup_id_y 0
		.amdhsa_system_sgpr_workgroup_id_z 0
		.amdhsa_system_sgpr_workgroup_info 0
		.amdhsa_system_vgpr_workitem_id 0
		.amdhsa_next_free_vgpr 12
		.amdhsa_next_free_sgpr 8
		.amdhsa_named_barrier_count 0
		.amdhsa_reserve_vcc 1
		.amdhsa_float_round_mode_32 0
		.amdhsa_float_round_mode_16_64 0
		.amdhsa_float_denorm_mode_32 3
		.amdhsa_float_denorm_mode_16_64 3
		.amdhsa_fp16_overflow 0
		.amdhsa_memory_ordered 1
		.amdhsa_forward_progress 1
		.amdhsa_inst_pref_size 2
		.amdhsa_round_robin_scheduling 0
		.amdhsa_exception_fp_ieee_invalid_op 0
		.amdhsa_exception_fp_denorm_src 0
		.amdhsa_exception_fp_ieee_div_zero 0
		.amdhsa_exception_fp_ieee_overflow 0
		.amdhsa_exception_fp_ieee_underflow 0
		.amdhsa_exception_fp_ieee_inexact 0
		.amdhsa_exception_int_div_zero 0
	.end_amdhsa_kernel
	.section	.text._Z16sort_keys_valuesILj256ELj3EiiN10test_utils4lessEEvPT1_PT2_T3_,"axG",@progbits,_Z16sort_keys_valuesILj256ELj3EiiN10test_utils4lessEEvPT1_PT2_T3_,comdat
.Lfunc_end26:
	.size	_Z16sort_keys_valuesILj256ELj3EiiN10test_utils4lessEEvPT1_PT2_T3_, .Lfunc_end26-_Z16sort_keys_valuesILj256ELj3EiiN10test_utils4lessEEvPT1_PT2_T3_
                                        ; -- End function
	.set _Z16sort_keys_valuesILj256ELj3EiiN10test_utils4lessEEvPT1_PT2_T3_.num_vgpr, 12
	.set _Z16sort_keys_valuesILj256ELj3EiiN10test_utils4lessEEvPT1_PT2_T3_.num_agpr, 0
	.set _Z16sort_keys_valuesILj256ELj3EiiN10test_utils4lessEEvPT1_PT2_T3_.numbered_sgpr, 8
	.set _Z16sort_keys_valuesILj256ELj3EiiN10test_utils4lessEEvPT1_PT2_T3_.num_named_barrier, 0
	.set _Z16sort_keys_valuesILj256ELj3EiiN10test_utils4lessEEvPT1_PT2_T3_.private_seg_size, 0
	.set _Z16sort_keys_valuesILj256ELj3EiiN10test_utils4lessEEvPT1_PT2_T3_.uses_vcc, 1
	.set _Z16sort_keys_valuesILj256ELj3EiiN10test_utils4lessEEvPT1_PT2_T3_.uses_flat_scratch, 0
	.set _Z16sort_keys_valuesILj256ELj3EiiN10test_utils4lessEEvPT1_PT2_T3_.has_dyn_sized_stack, 0
	.set _Z16sort_keys_valuesILj256ELj3EiiN10test_utils4lessEEvPT1_PT2_T3_.has_recursion, 0
	.set _Z16sort_keys_valuesILj256ELj3EiiN10test_utils4lessEEvPT1_PT2_T3_.has_indirect_call, 0
	.section	.AMDGPU.csdata,"",@progbits
; Kernel info:
; codeLenInByte = 244
; TotalNumSgprs: 10
; NumVgprs: 12
; ScratchSize: 0
; MemoryBound: 0
; FloatMode: 240
; IeeeMode: 1
; LDSByteSize: 0 bytes/workgroup (compile time only)
; SGPRBlocks: 0
; VGPRBlocks: 0
; NumSGPRsForWavesPerEU: 10
; NumVGPRsForWavesPerEU: 12
; NamedBarCnt: 0
; Occupancy: 16
; WaveLimiterHint : 0
; COMPUTE_PGM_RSRC2:SCRATCH_EN: 0
; COMPUTE_PGM_RSRC2:USER_SGPR: 2
; COMPUTE_PGM_RSRC2:TRAP_HANDLER: 0
; COMPUTE_PGM_RSRC2:TGID_X_EN: 1
; COMPUTE_PGM_RSRC2:TGID_Y_EN: 0
; COMPUTE_PGM_RSRC2:TGID_Z_EN: 0
; COMPUTE_PGM_RSRC2:TIDIG_COMP_CNT: 0
	.section	.text._Z16sort_keys_valuesILj256ELj2EjiN10test_utils4lessEEvPT1_PT2_T3_,"axG",@progbits,_Z16sort_keys_valuesILj256ELj2EjiN10test_utils4lessEEvPT1_PT2_T3_,comdat
	.protected	_Z16sort_keys_valuesILj256ELj2EjiN10test_utils4lessEEvPT1_PT2_T3_ ; -- Begin function _Z16sort_keys_valuesILj256ELj2EjiN10test_utils4lessEEvPT1_PT2_T3_
	.globl	_Z16sort_keys_valuesILj256ELj2EjiN10test_utils4lessEEvPT1_PT2_T3_
	.p2align	8
	.type	_Z16sort_keys_valuesILj256ELj2EjiN10test_utils4lessEEvPT1_PT2_T3_,@function
_Z16sort_keys_valuesILj256ELj2EjiN10test_utils4lessEEvPT1_PT2_T3_: ; @_Z16sort_keys_valuesILj256ELj2EjiN10test_utils4lessEEvPT1_PT2_T3_
; %bb.0:
	s_load_b128 s[0:3], s[0:1], 0x0
	s_bfe_u32 s4, ttmp6, 0x4000c
	s_and_b32 s5, ttmp6, 15
	s_add_co_i32 s4, s4, 1
	s_getreg_b32 s6, hwreg(HW_REG_IB_STS2, 6, 4)
	s_mul_i32 s4, ttmp9, s4
	s_delay_alu instid0(SALU_CYCLE_1) | instskip(SKIP_4) | instid1(SALU_CYCLE_1)
	s_add_co_i32 s5, s5, s4
	s_cmp_eq_u32 s6, 0
	s_cselect_b32 s4, ttmp9, s5
	s_mov_b32 s5, 0
	s_lshl_b32 s4, s4, 9
	s_lshl_b64 s[4:5], s[4:5], 2
	s_wait_kmcnt 0x0
	s_add_nc_u64 s[0:1], s[0:1], s[4:5]
	s_add_nc_u64 s[2:3], s[2:3], s[4:5]
	s_clause 0x1
	global_load_b64 v[2:3], v0, s[0:1] scale_offset
	global_load_b64 v[4:5], v0, s[2:3] scale_offset
	s_wait_loadcnt 0x1
	v_cmp_lt_u32_e32 vcc_lo, v3, v2
	s_wait_loadcnt 0x0
	v_dual_cndmask_b32 v7, v5, v4, vcc_lo :: v_dual_cndmask_b32 v9, v3, v2, vcc_lo
	v_dual_cndmask_b32 v8, v2, v3, vcc_lo :: v_dual_cndmask_b32 v6, v4, v5, vcc_lo
	s_clause 0x1
	global_store_b64 v0, v[8:9], s[0:1] scale_offset
	global_store_b64 v0, v[6:7], s[2:3] scale_offset
	s_endpgm
	.section	.rodata,"a",@progbits
	.p2align	6, 0x0
	.amdhsa_kernel _Z16sort_keys_valuesILj256ELj2EjiN10test_utils4lessEEvPT1_PT2_T3_
		.amdhsa_group_segment_fixed_size 0
		.amdhsa_private_segment_fixed_size 0
		.amdhsa_kernarg_size 20
		.amdhsa_user_sgpr_count 2
		.amdhsa_user_sgpr_dispatch_ptr 0
		.amdhsa_user_sgpr_queue_ptr 0
		.amdhsa_user_sgpr_kernarg_segment_ptr 1
		.amdhsa_user_sgpr_dispatch_id 0
		.amdhsa_user_sgpr_kernarg_preload_length 0
		.amdhsa_user_sgpr_kernarg_preload_offset 0
		.amdhsa_user_sgpr_private_segment_size 0
		.amdhsa_wavefront_size32 1
		.amdhsa_uses_dynamic_stack 0
		.amdhsa_enable_private_segment 0
		.amdhsa_system_sgpr_workgroup_id_x 1
		.amdhsa_system_sgpr_workgroup_id_y 0
		.amdhsa_system_sgpr_workgroup_id_z 0
		.amdhsa_system_sgpr_workgroup_info 0
		.amdhsa_system_vgpr_workitem_id 0
		.amdhsa_next_free_vgpr 10
		.amdhsa_next_free_sgpr 7
		.amdhsa_named_barrier_count 0
		.amdhsa_reserve_vcc 1
		.amdhsa_float_round_mode_32 0
		.amdhsa_float_round_mode_16_64 0
		.amdhsa_float_denorm_mode_32 3
		.amdhsa_float_denorm_mode_16_64 3
		.amdhsa_fp16_overflow 0
		.amdhsa_memory_ordered 1
		.amdhsa_forward_progress 1
		.amdhsa_inst_pref_size 2
		.amdhsa_round_robin_scheduling 0
		.amdhsa_exception_fp_ieee_invalid_op 0
		.amdhsa_exception_fp_denorm_src 0
		.amdhsa_exception_fp_ieee_div_zero 0
		.amdhsa_exception_fp_ieee_overflow 0
		.amdhsa_exception_fp_ieee_underflow 0
		.amdhsa_exception_fp_ieee_inexact 0
		.amdhsa_exception_int_div_zero 0
	.end_amdhsa_kernel
	.section	.text._Z16sort_keys_valuesILj256ELj2EjiN10test_utils4lessEEvPT1_PT2_T3_,"axG",@progbits,_Z16sort_keys_valuesILj256ELj2EjiN10test_utils4lessEEvPT1_PT2_T3_,comdat
.Lfunc_end27:
	.size	_Z16sort_keys_valuesILj256ELj2EjiN10test_utils4lessEEvPT1_PT2_T3_, .Lfunc_end27-_Z16sort_keys_valuesILj256ELj2EjiN10test_utils4lessEEvPT1_PT2_T3_
                                        ; -- End function
	.set _Z16sort_keys_valuesILj256ELj2EjiN10test_utils4lessEEvPT1_PT2_T3_.num_vgpr, 10
	.set _Z16sort_keys_valuesILj256ELj2EjiN10test_utils4lessEEvPT1_PT2_T3_.num_agpr, 0
	.set _Z16sort_keys_valuesILj256ELj2EjiN10test_utils4lessEEvPT1_PT2_T3_.numbered_sgpr, 7
	.set _Z16sort_keys_valuesILj256ELj2EjiN10test_utils4lessEEvPT1_PT2_T3_.num_named_barrier, 0
	.set _Z16sort_keys_valuesILj256ELj2EjiN10test_utils4lessEEvPT1_PT2_T3_.private_seg_size, 0
	.set _Z16sort_keys_valuesILj256ELj2EjiN10test_utils4lessEEvPT1_PT2_T3_.uses_vcc, 1
	.set _Z16sort_keys_valuesILj256ELj2EjiN10test_utils4lessEEvPT1_PT2_T3_.uses_flat_scratch, 0
	.set _Z16sort_keys_valuesILj256ELj2EjiN10test_utils4lessEEvPT1_PT2_T3_.has_dyn_sized_stack, 0
	.set _Z16sort_keys_valuesILj256ELj2EjiN10test_utils4lessEEvPT1_PT2_T3_.has_recursion, 0
	.set _Z16sort_keys_valuesILj256ELj2EjiN10test_utils4lessEEvPT1_PT2_T3_.has_indirect_call, 0
	.section	.AMDGPU.csdata,"",@progbits
; Kernel info:
; codeLenInByte = 168
; TotalNumSgprs: 9
; NumVgprs: 10
; ScratchSize: 0
; MemoryBound: 0
; FloatMode: 240
; IeeeMode: 1
; LDSByteSize: 0 bytes/workgroup (compile time only)
; SGPRBlocks: 0
; VGPRBlocks: 0
; NumSGPRsForWavesPerEU: 9
; NumVGPRsForWavesPerEU: 10
; NamedBarCnt: 0
; Occupancy: 16
; WaveLimiterHint : 0
; COMPUTE_PGM_RSRC2:SCRATCH_EN: 0
; COMPUTE_PGM_RSRC2:USER_SGPR: 2
; COMPUTE_PGM_RSRC2:TRAP_HANDLER: 0
; COMPUTE_PGM_RSRC2:TGID_X_EN: 1
; COMPUTE_PGM_RSRC2:TGID_Y_EN: 0
; COMPUTE_PGM_RSRC2:TGID_Z_EN: 0
; COMPUTE_PGM_RSRC2:TIDIG_COMP_CNT: 0
	.section	.text._Z16sort_keys_valuesILj256ELj1EiiN10test_utils4lessEEvPT1_PT2_T3_,"axG",@progbits,_Z16sort_keys_valuesILj256ELj1EiiN10test_utils4lessEEvPT1_PT2_T3_,comdat
	.protected	_Z16sort_keys_valuesILj256ELj1EiiN10test_utils4lessEEvPT1_PT2_T3_ ; -- Begin function _Z16sort_keys_valuesILj256ELj1EiiN10test_utils4lessEEvPT1_PT2_T3_
	.globl	_Z16sort_keys_valuesILj256ELj1EiiN10test_utils4lessEEvPT1_PT2_T3_
	.p2align	8
	.type	_Z16sort_keys_valuesILj256ELj1EiiN10test_utils4lessEEvPT1_PT2_T3_,@function
_Z16sort_keys_valuesILj256ELj1EiiN10test_utils4lessEEvPT1_PT2_T3_: ; @_Z16sort_keys_valuesILj256ELj1EiiN10test_utils4lessEEvPT1_PT2_T3_
; %bb.0:
	s_endpgm
	.section	.rodata,"a",@progbits
	.p2align	6, 0x0
	.amdhsa_kernel _Z16sort_keys_valuesILj256ELj1EiiN10test_utils4lessEEvPT1_PT2_T3_
		.amdhsa_group_segment_fixed_size 0
		.amdhsa_private_segment_fixed_size 0
		.amdhsa_kernarg_size 20
		.amdhsa_user_sgpr_count 2
		.amdhsa_user_sgpr_dispatch_ptr 0
		.amdhsa_user_sgpr_queue_ptr 0
		.amdhsa_user_sgpr_kernarg_segment_ptr 1
		.amdhsa_user_sgpr_dispatch_id 0
		.amdhsa_user_sgpr_kernarg_preload_length 0
		.amdhsa_user_sgpr_kernarg_preload_offset 0
		.amdhsa_user_sgpr_private_segment_size 0
		.amdhsa_wavefront_size32 1
		.amdhsa_uses_dynamic_stack 0
		.amdhsa_enable_private_segment 0
		.amdhsa_system_sgpr_workgroup_id_x 1
		.amdhsa_system_sgpr_workgroup_id_y 0
		.amdhsa_system_sgpr_workgroup_id_z 0
		.amdhsa_system_sgpr_workgroup_info 0
		.amdhsa_system_vgpr_workitem_id 0
		.amdhsa_next_free_vgpr 1
		.amdhsa_next_free_sgpr 1
		.amdhsa_named_barrier_count 0
		.amdhsa_reserve_vcc 0
		.amdhsa_float_round_mode_32 0
		.amdhsa_float_round_mode_16_64 0
		.amdhsa_float_denorm_mode_32 3
		.amdhsa_float_denorm_mode_16_64 3
		.amdhsa_fp16_overflow 0
		.amdhsa_memory_ordered 1
		.amdhsa_forward_progress 1
		.amdhsa_inst_pref_size 1
		.amdhsa_round_robin_scheduling 0
		.amdhsa_exception_fp_ieee_invalid_op 0
		.amdhsa_exception_fp_denorm_src 0
		.amdhsa_exception_fp_ieee_div_zero 0
		.amdhsa_exception_fp_ieee_overflow 0
		.amdhsa_exception_fp_ieee_underflow 0
		.amdhsa_exception_fp_ieee_inexact 0
		.amdhsa_exception_int_div_zero 0
	.end_amdhsa_kernel
	.section	.text._Z16sort_keys_valuesILj256ELj1EiiN10test_utils4lessEEvPT1_PT2_T3_,"axG",@progbits,_Z16sort_keys_valuesILj256ELj1EiiN10test_utils4lessEEvPT1_PT2_T3_,comdat
.Lfunc_end28:
	.size	_Z16sort_keys_valuesILj256ELj1EiiN10test_utils4lessEEvPT1_PT2_T3_, .Lfunc_end28-_Z16sort_keys_valuesILj256ELj1EiiN10test_utils4lessEEvPT1_PT2_T3_
                                        ; -- End function
	.set _Z16sort_keys_valuesILj256ELj1EiiN10test_utils4lessEEvPT1_PT2_T3_.num_vgpr, 0
	.set _Z16sort_keys_valuesILj256ELj1EiiN10test_utils4lessEEvPT1_PT2_T3_.num_agpr, 0
	.set _Z16sort_keys_valuesILj256ELj1EiiN10test_utils4lessEEvPT1_PT2_T3_.numbered_sgpr, 0
	.set _Z16sort_keys_valuesILj256ELj1EiiN10test_utils4lessEEvPT1_PT2_T3_.num_named_barrier, 0
	.set _Z16sort_keys_valuesILj256ELj1EiiN10test_utils4lessEEvPT1_PT2_T3_.private_seg_size, 0
	.set _Z16sort_keys_valuesILj256ELj1EiiN10test_utils4lessEEvPT1_PT2_T3_.uses_vcc, 0
	.set _Z16sort_keys_valuesILj256ELj1EiiN10test_utils4lessEEvPT1_PT2_T3_.uses_flat_scratch, 0
	.set _Z16sort_keys_valuesILj256ELj1EiiN10test_utils4lessEEvPT1_PT2_T3_.has_dyn_sized_stack, 0
	.set _Z16sort_keys_valuesILj256ELj1EiiN10test_utils4lessEEvPT1_PT2_T3_.has_recursion, 0
	.set _Z16sort_keys_valuesILj256ELj1EiiN10test_utils4lessEEvPT1_PT2_T3_.has_indirect_call, 0
	.section	.AMDGPU.csdata,"",@progbits
; Kernel info:
; codeLenInByte = 4
; TotalNumSgprs: 0
; NumVgprs: 0
; ScratchSize: 0
; MemoryBound: 0
; FloatMode: 240
; IeeeMode: 1
; LDSByteSize: 0 bytes/workgroup (compile time only)
; SGPRBlocks: 0
; VGPRBlocks: 0
; NumSGPRsForWavesPerEU: 1
; NumVGPRsForWavesPerEU: 1
; NamedBarCnt: 0
; Occupancy: 16
; WaveLimiterHint : 0
; COMPUTE_PGM_RSRC2:SCRATCH_EN: 0
; COMPUTE_PGM_RSRC2:USER_SGPR: 2
; COMPUTE_PGM_RSRC2:TRAP_HANDLER: 0
; COMPUTE_PGM_RSRC2:TGID_X_EN: 1
; COMPUTE_PGM_RSRC2:TGID_Y_EN: 0
; COMPUTE_PGM_RSRC2:TGID_Z_EN: 0
; COMPUTE_PGM_RSRC2:TIDIG_COMP_CNT: 0
	.section	.AMDGPU.gpr_maximums,"",@progbits
	.set amdgpu.max_num_vgpr, 0
	.set amdgpu.max_num_agpr, 0
	.set amdgpu.max_num_sgpr, 0
	.section	.AMDGPU.csdata,"",@progbits
	.type	__hip_cuid_48877501944657a,@object ; @__hip_cuid_48877501944657a
	.section	.bss,"aw",@nobits
	.globl	__hip_cuid_48877501944657a
__hip_cuid_48877501944657a:
	.byte	0                               ; 0x0
	.size	__hip_cuid_48877501944657a, 1

	.ident	"AMD clang version 22.0.0git (https://github.com/RadeonOpenCompute/llvm-project roc-7.2.4 26084 f58b06dce1f9c15707c5f808fd002e18c2accf7e)"
	.section	".note.GNU-stack","",@progbits
	.addrsig
	.addrsig_sym __hip_cuid_48877501944657a
	.amdgpu_metadata
---
amdhsa.kernels:
  - .args:
      - .address_space:  global
        .offset:         0
        .size:           8
        .value_kind:     global_buffer
      - .offset:         8
        .size:           1
        .value_kind:     by_value
    .group_segment_fixed_size: 0
    .kernarg_segment_align: 8
    .kernarg_segment_size: 12
    .language:       OpenCL C
    .language_version:
      - 2
      - 0
    .max_flat_workgroup_size: 256
    .name:           _Z9sort_keysILj256ELj7E12hip_bfloat16N10test_utils4lessEEvPT1_T2_
    .private_segment_fixed_size: 0
    .sgpr_count:     9
    .sgpr_spill_count: 0
    .symbol:         _Z9sort_keysILj256ELj7E12hip_bfloat16N10test_utils4lessEEvPT1_T2_.kd
    .uniform_work_group_size: 1
    .uses_dynamic_stack: false
    .vgpr_count:     18
    .vgpr_spill_count: 0
    .wavefront_size: 32
  - .args:
      - .address_space:  global
        .offset:         0
        .size:           8
        .value_kind:     global_buffer
      - .offset:         8
        .size:           1
        .value_kind:     by_value
    .group_segment_fixed_size: 0
    .kernarg_segment_align: 8
    .kernarg_segment_size: 12
    .language:       OpenCL C
    .language_version:
      - 2
      - 0
    .max_flat_workgroup_size: 256
    .name:           _Z9sort_keysILj256ELj6E6__halfN10test_utils4lessEEvPT1_T2_
    .private_segment_fixed_size: 0
    .sgpr_count:     8
    .sgpr_spill_count: 0
    .symbol:         _Z9sort_keysILj256ELj6E6__halfN10test_utils4lessEEvPT1_T2_.kd
    .uniform_work_group_size: 1
    .uses_dynamic_stack: false
    .vgpr_count:     16
    .vgpr_spill_count: 0
    .wavefront_size: 32
  - .args:
      - .address_space:  global
        .offset:         0
        .size:           8
        .value_kind:     global_buffer
      - .offset:         8
        .size:           1
        .value_kind:     by_value
    .group_segment_fixed_size: 0
    .kernarg_segment_align: 8
    .kernarg_segment_size: 12
    .language:       OpenCL C
    .language_version:
      - 2
      - 0
    .max_flat_workgroup_size: 256
    .name:           _Z9sort_keysILj256ELj4EN10test_utils16custom_test_typeIiEENS0_4lessEEvPT1_T2_
    .private_segment_fixed_size: 0
    .sgpr_count:     7
    .sgpr_spill_count: 0
    .symbol:         _Z9sort_keysILj256ELj4EN10test_utils16custom_test_typeIiEENS0_4lessEEvPT1_T2_.kd
    .uniform_work_group_size: 1
    .uses_dynamic_stack: false
    .vgpr_count:     28
    .vgpr_spill_count: 0
    .wavefront_size: 32
  - .args:
      - .address_space:  global
        .offset:         0
        .size:           8
        .value_kind:     global_buffer
      - .offset:         8
        .size:           1
        .value_kind:     by_value
    .group_segment_fixed_size: 0
    .kernarg_segment_align: 8
    .kernarg_segment_size: 12
    .language:       OpenCL C
    .language_version:
      - 2
      - 0
    .max_flat_workgroup_size: 256
    .name:           _Z9sort_keysILj256ELj11EdN10test_utils4lessEEvPT1_T2_
    .private_segment_fixed_size: 0
    .sgpr_count:     10
    .sgpr_spill_count: 0
    .symbol:         _Z9sort_keysILj256ELj11EdN10test_utils4lessEEvPT1_T2_.kd
    .uniform_work_group_size: 1
    .uses_dynamic_stack: false
    .vgpr_count:     40
    .vgpr_spill_count: 0
    .wavefront_size: 32
  - .args:
      - .address_space:  global
        .offset:         0
        .size:           8
        .value_kind:     global_buffer
      - .offset:         8
        .size:           1
        .value_kind:     by_value
    .group_segment_fixed_size: 0
    .kernarg_segment_align: 8
    .kernarg_segment_size: 12
    .language:       OpenCL C
    .language_version:
      - 2
      - 0
    .max_flat_workgroup_size: 256
    .name:           _Z9sort_keysILj256ELj10EhN10test_utils4lessEEvPT1_T2_
    .private_segment_fixed_size: 0
    .sgpr_count:     7
    .sgpr_spill_count: 0
    .symbol:         _Z9sort_keysILj256ELj10EhN10test_utils4lessEEvPT1_T2_.kd
    .uniform_work_group_size: 1
    .uses_dynamic_stack: false
    .vgpr_count:     16
    .vgpr_spill_count: 0
    .wavefront_size: 32
  - .args:
      - .address_space:  global
        .offset:         0
        .size:           8
        .value_kind:     global_buffer
      - .offset:         8
        .size:           1
        .value_kind:     by_value
    .group_segment_fixed_size: 0
    .kernarg_segment_align: 8
    .kernarg_segment_size: 12
    .language:       OpenCL C
    .language_version:
      - 2
      - 0
    .max_flat_workgroup_size: 256
    .name:           _Z9sort_keysILj256ELj9EyN10test_utils4lessEEvPT1_T2_
    .private_segment_fixed_size: 0
    .sgpr_count:     12
    .sgpr_spill_count: 0
    .symbol:         _Z9sort_keysILj256ELj9EyN10test_utils4lessEEvPT1_T2_.kd
    .uniform_work_group_size: 1
    .uses_dynamic_stack: false
    .vgpr_count:     58
    .vgpr_spill_count: 0
    .wavefront_size: 32
  - .args:
      - .address_space:  global
        .offset:         0
        .size:           8
        .value_kind:     global_buffer
      - .offset:         8
        .size:           1
        .value_kind:     by_value
    .group_segment_fixed_size: 0
    .kernarg_segment_align: 8
    .kernarg_segment_size: 12
    .language:       OpenCL C
    .language_version:
      - 2
      - 0
    .max_flat_workgroup_size: 256
    .name:           _Z9sort_keysILj256ELj8EtN10test_utils4lessEEvPT1_T2_
    .private_segment_fixed_size: 0
    .sgpr_count:     7
    .sgpr_spill_count: 0
    .symbol:         _Z9sort_keysILj256ELj8EtN10test_utils4lessEEvPT1_T2_.kd
    .uniform_work_group_size: 1
    .uses_dynamic_stack: false
    .vgpr_count:     16
    .vgpr_spill_count: 0
    .wavefront_size: 32
  - .args:
      - .address_space:  global
        .offset:         0
        .size:           8
        .value_kind:     global_buffer
      - .offset:         8
        .size:           1
        .value_kind:     by_value
    .group_segment_fixed_size: 0
    .kernarg_segment_align: 8
    .kernarg_segment_size: 12
    .language:       OpenCL C
    .language_version:
      - 2
      - 0
    .max_flat_workgroup_size: 256
    .name:           _Z9sort_keysILj256ELj7EiN10test_utils4lessEEvPT1_T2_
    .private_segment_fixed_size: 0
    .sgpr_count:     7
    .sgpr_spill_count: 0
    .symbol:         _Z9sort_keysILj256ELj7EiN10test_utils4lessEEvPT1_T2_.kd
    .uniform_work_group_size: 1
    .uses_dynamic_stack: false
    .vgpr_count:     15
    .vgpr_spill_count: 0
    .wavefront_size: 32
  - .args:
      - .address_space:  global
        .offset:         0
        .size:           8
        .value_kind:     global_buffer
      - .offset:         8
        .size:           1
        .value_kind:     by_value
    .group_segment_fixed_size: 0
    .kernarg_segment_align: 8
    .kernarg_segment_size: 12
    .language:       OpenCL C
    .language_version:
      - 2
      - 0
    .max_flat_workgroup_size: 256
    .name:           _Z9sort_keysILj256ELj6EfN10test_utils7greaterEEvPT1_T2_
    .private_segment_fixed_size: 0
    .sgpr_count:     7
    .sgpr_spill_count: 0
    .symbol:         _Z9sort_keysILj256ELj6EfN10test_utils7greaterEEvPT1_T2_.kd
    .uniform_work_group_size: 1
    .uses_dynamic_stack: false
    .vgpr_count:     10
    .vgpr_spill_count: 0
    .wavefront_size: 32
  - .args:
      - .address_space:  global
        .offset:         0
        .size:           8
        .value_kind:     global_buffer
      - .offset:         8
        .size:           1
        .value_kind:     by_value
    .group_segment_fixed_size: 0
    .kernarg_segment_align: 8
    .kernarg_segment_size: 12
    .language:       OpenCL C
    .language_version:
      - 2
      - 0
    .max_flat_workgroup_size: 256
    .name:           _Z9sort_keysILj256ELj5EtN10test_utils4lessEEvPT1_T2_
    .private_segment_fixed_size: 0
    .sgpr_count:     7
    .sgpr_spill_count: 0
    .symbol:         _Z9sort_keysILj256ELj5EtN10test_utils4lessEEvPT1_T2_.kd
    .uniform_work_group_size: 1
    .uses_dynamic_stack: false
    .vgpr_count:     12
    .vgpr_spill_count: 0
    .wavefront_size: 32
  - .args:
      - .address_space:  global
        .offset:         0
        .size:           8
        .value_kind:     global_buffer
      - .offset:         8
        .size:           1
        .value_kind:     by_value
    .group_segment_fixed_size: 0
    .kernarg_segment_align: 8
    .kernarg_segment_size: 12
    .language:       OpenCL C
    .language_version:
      - 2
      - 0
    .max_flat_workgroup_size: 256
    .name:           _Z9sort_keysILj256ELj4EjN10test_utils4lessEEvPT1_T2_
    .private_segment_fixed_size: 0
    .sgpr_count:     7
    .sgpr_spill_count: 0
    .symbol:         _Z9sort_keysILj256ELj4EjN10test_utils4lessEEvPT1_T2_.kd
    .uniform_work_group_size: 1
    .uses_dynamic_stack: false
    .vgpr_count:     11
    .vgpr_spill_count: 0
    .wavefront_size: 32
  - .args:
      - .address_space:  global
        .offset:         0
        .size:           8
        .value_kind:     global_buffer
      - .offset:         8
        .size:           1
        .value_kind:     by_value
    .group_segment_fixed_size: 0
    .kernarg_segment_align: 8
    .kernarg_segment_size: 12
    .language:       OpenCL C
    .language_version:
      - 2
      - 0
    .max_flat_workgroup_size: 256
    .name:           _Z9sort_keysILj256ELj3EiN10test_utils4lessEEvPT1_T2_
    .private_segment_fixed_size: 0
    .sgpr_count:     7
    .sgpr_spill_count: 0
    .symbol:         _Z9sort_keysILj256ELj3EiN10test_utils4lessEEvPT1_T2_.kd
    .uniform_work_group_size: 1
    .uses_dynamic_stack: false
    .vgpr_count:     8
    .vgpr_spill_count: 0
    .wavefront_size: 32
  - .args:
      - .address_space:  global
        .offset:         0
        .size:           8
        .value_kind:     global_buffer
      - .offset:         8
        .size:           1
        .value_kind:     by_value
    .group_segment_fixed_size: 0
    .kernarg_segment_align: 8
    .kernarg_segment_size: 12
    .language:       OpenCL C
    .language_version:
      - 2
      - 0
    .max_flat_workgroup_size: 256
    .name:           _Z9sort_keysILj256ELj2EjN10test_utils4lessEEvPT1_T2_
    .private_segment_fixed_size: 0
    .sgpr_count:     7
    .sgpr_spill_count: 0
    .symbol:         _Z9sort_keysILj256ELj2EjN10test_utils4lessEEvPT1_T2_.kd
    .uniform_work_group_size: 1
    .uses_dynamic_stack: false
    .vgpr_count:     6
    .vgpr_spill_count: 0
    .wavefront_size: 32
  - .args:
      - .address_space:  global
        .offset:         0
        .size:           8
        .value_kind:     global_buffer
      - .offset:         8
        .size:           1
        .value_kind:     by_value
    .group_segment_fixed_size: 0
    .kernarg_segment_align: 8
    .kernarg_segment_size: 12
    .language:       OpenCL C
    .language_version:
      - 2
      - 0
    .max_flat_workgroup_size: 256
    .name:           _Z9sort_keysILj256ELj1EiN10test_utils4lessEEvPT1_T2_
    .private_segment_fixed_size: 0
    .sgpr_count:     0
    .sgpr_spill_count: 0
    .symbol:         _Z9sort_keysILj256ELj1EiN10test_utils4lessEEvPT1_T2_.kd
    .uniform_work_group_size: 1
    .uses_dynamic_stack: false
    .vgpr_count:     0
    .vgpr_spill_count: 0
    .wavefront_size: 32
  - .args:
      - .address_space:  global
        .offset:         0
        .size:           8
        .value_kind:     global_buffer
      - .address_space:  global
        .offset:         8
        .size:           8
        .value_kind:     global_buffer
      - .offset:         16
        .size:           1
        .value_kind:     by_value
    .group_segment_fixed_size: 0
    .kernarg_segment_align: 8
    .kernarg_segment_size: 20
    .language:       OpenCL C
    .language_version:
      - 2
      - 0
    .max_flat_workgroup_size: 256
    .name:           _Z16sort_keys_valuesILj256ELj7E12hip_bfloat16iN10test_utils4lessEEvPT1_PT2_T3_
    .private_segment_fixed_size: 0
    .sgpr_count:     10
    .sgpr_spill_count: 0
    .symbol:         _Z16sort_keys_valuesILj256ELj7E12hip_bfloat16iN10test_utils4lessEEvPT1_PT2_T3_.kd
    .uniform_work_group_size: 1
    .uses_dynamic_stack: false
    .vgpr_count:     24
    .vgpr_spill_count: 0
    .wavefront_size: 32
  - .args:
      - .address_space:  global
        .offset:         0
        .size:           8
        .value_kind:     global_buffer
      - .address_space:  global
        .offset:         8
        .size:           8
        .value_kind:     global_buffer
      - .offset:         16
        .size:           1
        .value_kind:     by_value
    .group_segment_fixed_size: 0
    .kernarg_segment_align: 8
    .kernarg_segment_size: 20
    .language:       OpenCL C
    .language_version:
      - 2
      - 0
    .max_flat_workgroup_size: 256
    .name:           _Z16sort_keys_valuesILj256ELj6E6__halfS0_N10test_utils4lessEEvPT1_PT2_T3_
    .private_segment_fixed_size: 0
    .sgpr_count:     7
    .sgpr_spill_count: 0
    .symbol:         _Z16sort_keys_valuesILj256ELj6E6__halfS0_N10test_utils4lessEEvPT1_PT2_T3_.kd
    .uniform_work_group_size: 1
    .uses_dynamic_stack: false
    .vgpr_count:     21
    .vgpr_spill_count: 0
    .wavefront_size: 32
  - .args:
      - .address_space:  global
        .offset:         0
        .size:           8
        .value_kind:     global_buffer
      - .address_space:  global
        .offset:         8
        .size:           8
        .value_kind:     global_buffer
      - .offset:         16
        .size:           1
        .value_kind:     by_value
    .group_segment_fixed_size: 0
    .kernarg_segment_align: 8
    .kernarg_segment_size: 20
    .language:       OpenCL C
    .language_version:
      - 2
      - 0
    .max_flat_workgroup_size: 256
    .name:           _Z16sort_keys_valuesILj256ELj7E12hip_bfloat16S0_N10test_utils4lessEEvPT1_PT2_T3_
    .private_segment_fixed_size: 0
    .sgpr_count:     9
    .sgpr_spill_count: 0
    .symbol:         _Z16sort_keys_valuesILj256ELj7E12hip_bfloat16S0_N10test_utils4lessEEvPT1_PT2_T3_.kd
    .uniform_work_group_size: 1
    .uses_dynamic_stack: false
    .vgpr_count:     25
    .vgpr_spill_count: 0
    .wavefront_size: 32
  - .args:
      - .address_space:  global
        .offset:         0
        .size:           8
        .value_kind:     global_buffer
      - .address_space:  global
        .offset:         8
        .size:           8
        .value_kind:     global_buffer
      - .offset:         16
        .size:           1
        .value_kind:     by_value
    .group_segment_fixed_size: 0
    .kernarg_segment_align: 8
    .kernarg_segment_size: 20
    .language:       OpenCL C
    .language_version:
      - 2
      - 0
    .max_flat_workgroup_size: 256
    .name:           _Z16sort_keys_valuesILj256ELj4EN10test_utils16custom_test_typeIiEENS1_IcEENS0_4lessEEvPT1_PT2_T3_
    .private_segment_fixed_size: 0
    .sgpr_count:     10
    .sgpr_spill_count: 0
    .symbol:         _Z16sort_keys_valuesILj256ELj4EN10test_utils16custom_test_typeIiEENS1_IcEENS0_4lessEEvPT1_PT2_T3_.kd
    .uniform_work_group_size: 1
    .uses_dynamic_stack: false
    .vgpr_count:     27
    .vgpr_spill_count: 0
    .wavefront_size: 32
  - .args:
      - .address_space:  global
        .offset:         0
        .size:           8
        .value_kind:     global_buffer
      - .address_space:  global
        .offset:         8
        .size:           8
        .value_kind:     global_buffer
      - .offset:         16
        .size:           1
        .value_kind:     by_value
    .group_segment_fixed_size: 0
    .kernarg_segment_align: 8
    .kernarg_segment_size: 20
    .language:       OpenCL C
    .language_version:
      - 2
      - 0
    .max_flat_workgroup_size: 256
    .name:           _Z16sort_keys_valuesILj256ELj11EdxN10test_utils4lessEEvPT1_PT2_T3_
    .private_segment_fixed_size: 0
    .sgpr_count:     10
    .sgpr_spill_count: 0
    .symbol:         _Z16sort_keys_valuesILj256ELj11EdxN10test_utils4lessEEvPT1_PT2_T3_.kd
    .uniform_work_group_size: 1
    .uses_dynamic_stack: false
    .vgpr_count:     89
    .vgpr_spill_count: 0
    .wavefront_size: 32
  - .args:
      - .address_space:  global
        .offset:         0
        .size:           8
        .value_kind:     global_buffer
      - .address_space:  global
        .offset:         8
        .size:           8
        .value_kind:     global_buffer
      - .offset:         16
        .size:           1
        .value_kind:     by_value
    .group_segment_fixed_size: 0
    .kernarg_segment_align: 8
    .kernarg_segment_size: 20
    .language:       OpenCL C
    .language_version:
      - 2
      - 0
    .max_flat_workgroup_size: 256
    .name:           _Z16sort_keys_valuesILj256ELj10EhiN10test_utils4lessEEvPT1_PT2_T3_
    .private_segment_fixed_size: 0
    .sgpr_count:     14
    .sgpr_spill_count: 0
    .symbol:         _Z16sort_keys_valuesILj256ELj10EhiN10test_utils4lessEEvPT1_PT2_T3_.kd
    .uniform_work_group_size: 1
    .uses_dynamic_stack: false
    .vgpr_count:     25
    .vgpr_spill_count: 0
    .wavefront_size: 32
  - .args:
      - .address_space:  global
        .offset:         0
        .size:           8
        .value_kind:     global_buffer
      - .address_space:  global
        .offset:         8
        .size:           8
        .value_kind:     global_buffer
      - .offset:         16
        .size:           1
        .value_kind:     by_value
    .group_segment_fixed_size: 0
    .kernarg_segment_align: 8
    .kernarg_segment_size: 20
    .language:       OpenCL C
    .language_version:
      - 2
      - 0
    .max_flat_workgroup_size: 256
    .name:           _Z16sort_keys_valuesILj256ELj9EycN10test_utils4lessEEvPT1_PT2_T3_
    .private_segment_fixed_size: 0
    .sgpr_count:     12
    .sgpr_spill_count: 0
    .symbol:         _Z16sort_keys_valuesILj256ELj9EycN10test_utils4lessEEvPT1_PT2_T3_.kd
    .uniform_work_group_size: 1
    .uses_dynamic_stack: false
    .vgpr_count:     32
    .vgpr_spill_count: 0
    .wavefront_size: 32
  - .args:
      - .address_space:  global
        .offset:         0
        .size:           8
        .value_kind:     global_buffer
      - .address_space:  global
        .offset:         8
        .size:           8
        .value_kind:     global_buffer
      - .offset:         16
        .size:           1
        .value_kind:     by_value
    .group_segment_fixed_size: 0
    .kernarg_segment_align: 8
    .kernarg_segment_size: 20
    .language:       OpenCL C
    .language_version:
      - 2
      - 0
    .max_flat_workgroup_size: 256
    .name:           _Z16sort_keys_valuesILj256ELj8EtcN10test_utils4lessEEvPT1_PT2_T3_
    .private_segment_fixed_size: 0
    .sgpr_count:     9
    .sgpr_spill_count: 0
    .symbol:         _Z16sort_keys_valuesILj256ELj8EtcN10test_utils4lessEEvPT1_PT2_T3_.kd
    .uniform_work_group_size: 1
    .uses_dynamic_stack: false
    .vgpr_count:     14
    .vgpr_spill_count: 0
    .wavefront_size: 32
  - .args:
      - .address_space:  global
        .offset:         0
        .size:           8
        .value_kind:     global_buffer
      - .address_space:  global
        .offset:         8
        .size:           8
        .value_kind:     global_buffer
      - .offset:         16
        .size:           1
        .value_kind:     by_value
    .group_segment_fixed_size: 0
    .kernarg_segment_align: 8
    .kernarg_segment_size: 20
    .language:       OpenCL C
    .language_version:
      - 2
      - 0
    .max_flat_workgroup_size: 256
    .name:           _Z16sort_keys_valuesILj256ELj7EisN10test_utils4lessEEvPT1_PT2_T3_
    .private_segment_fixed_size: 0
    .sgpr_count:     10
    .sgpr_spill_count: 0
    .symbol:         _Z16sort_keys_valuesILj256ELj7EisN10test_utils4lessEEvPT1_PT2_T3_.kd
    .uniform_work_group_size: 1
    .uses_dynamic_stack: false
    .vgpr_count:     23
    .vgpr_spill_count: 0
    .wavefront_size: 32
  - .args:
      - .address_space:  global
        .offset:         0
        .size:           8
        .value_kind:     global_buffer
      - .address_space:  global
        .offset:         8
        .size:           8
        .value_kind:     global_buffer
      - .offset:         16
        .size:           1
        .value_kind:     by_value
    .group_segment_fixed_size: 0
    .kernarg_segment_align: 8
    .kernarg_segment_size: 20
    .language:       OpenCL C
    .language_version:
      - 2
      - 0
    .max_flat_workgroup_size: 256
    .name:           _Z16sort_keys_valuesILj256ELj6EfcN10test_utils7greaterEEvPT1_PT2_T3_
    .private_segment_fixed_size: 0
    .sgpr_count:     10
    .sgpr_spill_count: 0
    .symbol:         _Z16sort_keys_valuesILj256ELj6EfcN10test_utils7greaterEEvPT1_PT2_T3_.kd
    .uniform_work_group_size: 1
    .uses_dynamic_stack: false
    .vgpr_count:     16
    .vgpr_spill_count: 0
    .wavefront_size: 32
  - .args:
      - .address_space:  global
        .offset:         0
        .size:           8
        .value_kind:     global_buffer
      - .address_space:  global
        .offset:         8
        .size:           8
        .value_kind:     global_buffer
      - .offset:         16
        .size:           1
        .value_kind:     by_value
    .group_segment_fixed_size: 0
    .kernarg_segment_align: 8
    .kernarg_segment_size: 20
    .language:       OpenCL C
    .language_version:
      - 2
      - 0
    .max_flat_workgroup_size: 256
    .name:           _Z16sort_keys_valuesILj256ELj5EtcN10test_utils4lessEEvPT1_PT2_T3_
    .private_segment_fixed_size: 0
    .sgpr_count:     9
    .sgpr_spill_count: 0
    .symbol:         _Z16sort_keys_valuesILj256ELj5EtcN10test_utils4lessEEvPT1_PT2_T3_.kd
    .uniform_work_group_size: 1
    .uses_dynamic_stack: false
    .vgpr_count:     13
    .vgpr_spill_count: 0
    .wavefront_size: 32
  - .args:
      - .address_space:  global
        .offset:         0
        .size:           8
        .value_kind:     global_buffer
      - .address_space:  global
        .offset:         8
        .size:           8
        .value_kind:     global_buffer
      - .offset:         16
        .size:           1
        .value_kind:     by_value
    .group_segment_fixed_size: 0
    .kernarg_segment_align: 8
    .kernarg_segment_size: 20
    .language:       OpenCL C
    .language_version:
      - 2
      - 0
    .max_flat_workgroup_size: 256
    .name:           _Z16sort_keys_valuesILj256ELj4EjiN10test_utils4lessEEvPT1_PT2_T3_
    .private_segment_fixed_size: 0
    .sgpr_count:     10
    .sgpr_spill_count: 0
    .symbol:         _Z16sort_keys_valuesILj256ELj4EjiN10test_utils4lessEEvPT1_PT2_T3_.kd
    .uniform_work_group_size: 1
    .uses_dynamic_stack: false
    .vgpr_count:     14
    .vgpr_spill_count: 0
    .wavefront_size: 32
  - .args:
      - .address_space:  global
        .offset:         0
        .size:           8
        .value_kind:     global_buffer
      - .address_space:  global
        .offset:         8
        .size:           8
        .value_kind:     global_buffer
      - .offset:         16
        .size:           1
        .value_kind:     by_value
    .group_segment_fixed_size: 0
    .kernarg_segment_align: 8
    .kernarg_segment_size: 20
    .language:       OpenCL C
    .language_version:
      - 2
      - 0
    .max_flat_workgroup_size: 256
    .name:           _Z16sort_keys_valuesILj256ELj3EiiN10test_utils4lessEEvPT1_PT2_T3_
    .private_segment_fixed_size: 0
    .sgpr_count:     10
    .sgpr_spill_count: 0
    .symbol:         _Z16sort_keys_valuesILj256ELj3EiiN10test_utils4lessEEvPT1_PT2_T3_.kd
    .uniform_work_group_size: 1
    .uses_dynamic_stack: false
    .vgpr_count:     12
    .vgpr_spill_count: 0
    .wavefront_size: 32
  - .args:
      - .address_space:  global
        .offset:         0
        .size:           8
        .value_kind:     global_buffer
      - .address_space:  global
        .offset:         8
        .size:           8
        .value_kind:     global_buffer
      - .offset:         16
        .size:           1
        .value_kind:     by_value
    .group_segment_fixed_size: 0
    .kernarg_segment_align: 8
    .kernarg_segment_size: 20
    .language:       OpenCL C
    .language_version:
      - 2
      - 0
    .max_flat_workgroup_size: 256
    .name:           _Z16sort_keys_valuesILj256ELj2EjiN10test_utils4lessEEvPT1_PT2_T3_
    .private_segment_fixed_size: 0
    .sgpr_count:     9
    .sgpr_spill_count: 0
    .symbol:         _Z16sort_keys_valuesILj256ELj2EjiN10test_utils4lessEEvPT1_PT2_T3_.kd
    .uniform_work_group_size: 1
    .uses_dynamic_stack: false
    .vgpr_count:     10
    .vgpr_spill_count: 0
    .wavefront_size: 32
  - .args:
      - .address_space:  global
        .offset:         0
        .size:           8
        .value_kind:     global_buffer
      - .address_space:  global
        .offset:         8
        .size:           8
        .value_kind:     global_buffer
      - .offset:         16
        .size:           1
        .value_kind:     by_value
    .group_segment_fixed_size: 0
    .kernarg_segment_align: 8
    .kernarg_segment_size: 20
    .language:       OpenCL C
    .language_version:
      - 2
      - 0
    .max_flat_workgroup_size: 256
    .name:           _Z16sort_keys_valuesILj256ELj1EiiN10test_utils4lessEEvPT1_PT2_T3_
    .private_segment_fixed_size: 0
    .sgpr_count:     0
    .sgpr_spill_count: 0
    .symbol:         _Z16sort_keys_valuesILj256ELj1EiiN10test_utils4lessEEvPT1_PT2_T3_.kd
    .uniform_work_group_size: 1
    .uses_dynamic_stack: false
    .vgpr_count:     0
    .vgpr_spill_count: 0
    .wavefront_size: 32
amdhsa.target:   amdgcn-amd-amdhsa--gfx1250
amdhsa.version:
  - 1
  - 2
...

	.end_amdgpu_metadata
